;; amdgpu-corpus repo=ROCm/aiter kind=harvested arch=n/a opt=n/a

/root/src/amdgpu-assembly/repos/ROCm__aiter/hsa/gfx942/fmoe_2stages/fmoe_stage1_bf16_pertokenFp8_blockscale_g1u1_128x128_pf2.co:	file format elf64-amdgpu

Disassembly of section .text:

0000000000002a00 <_ZN5aiter56fmoe_stage1_bf16_pertokenFp8_blockscale_g1u1_128x128_pf2E>:
	s_and_b32 s1, s1, 0xffff                                   // 000000002A00: 8601FF01 0000FFFF
	s_load_dwordx2 s[8:9], s[0:1], 0x0                         // 000000002A08: C0060200 00000000
	s_load_dwordx2 s[20:21], s[0:1], 0x10                      // 000000002A10: C0060500 00000010
	s_load_dwordx2 s[24:25], s[0:1], 0x20                      // 000000002A18: C0060600 00000020
	s_load_dwordx2 s[48:49], s[0:1], 0x30                      // 000000002A20: C0060C00 00000030
	s_load_dwordx2 s[28:29], s[0:1], 0x40                      // 000000002A28: C0060700 00000040
	s_load_dwordx2 s[32:33], s[0:1], 0x50                      // 000000002A30: C0060800 00000050
	s_load_dwordx2 s[36:37], s[0:1], 0x60                      // 000000002A38: C0060900 00000060
	s_load_dwordx2 s[12:13], s[0:1], 0x70                      // 000000002A40: C0060300 00000070
	s_load_dwordx2 s[44:45], s[0:1], 0x80                      // 000000002A48: C0060B00 00000080
	s_mov_b32 s89, 0                                           // 000000002A50: BED90080
	s_load_dword s64, s[0:1], 0x90                             // 000000002A54: C0021000 00000090
	s_load_dword s65, s[0:1], 0xa0                             // 000000002A5C: C0021040 000000A0
	s_load_dword s66, s[0:1], 0xb0                             // 000000002A64: C0021080 000000B0
	s_load_dword s67, s[0:1], 0xc0                             // 000000002A6C: C00210C0 000000C0
	s_load_dword s68, s[0:1], 0xd0                             // 000000002A74: C0021100 000000D0
	s_load_dword s69, s[0:1], 0xe0                             // 000000002A7C: C0021140 000000E0
	s_load_dword s71, s[0:1], 0xf0                             // 000000002A84: C00211C0 000000F0
	s_load_dword s72, s[0:1], 0x100                            // 000000002A8C: C0021200 00000100
	s_load_dword s74, s[0:1], 0x110                            // 000000002A94: C0021280 00000110
	s_load_dword s76, s[0:1], 0x120                            // 000000002A9C: C0021300 00000120
	s_load_dword s56, s[0:1], 0x130                            // 000000002AA4: C0020E00 00000130
	s_load_dword s88, s[0:1], 0x140                            // 000000002AAC: C0021600 00000140
	s_load_dword s89, s[0:1], 0x150                            // 000000002AB4: C0021640 00000150
	v_lshrrev_b32_e32 v1, 10, v0                               // 000000002ABC: 2002008A
	v_lshrrev_b32_e32 v2, 10, v1                               // 000000002AC0: 2004028A
	v_and_b32_e32 v2, 0x3ff, v2                                // 000000002AC4: 260404FF 000003FF
	v_and_b32_e32 v1, 0x3ff, v1                                // 000000002ACC: 260202FF 000003FF
	v_and_b32_e32 v0, 0x3ff, v0                                // 000000002AD4: 260000FF 000003FF
	v_lshrrev_b32_e32 v3, 6, v0                                // 000000002ADC: 20060086
	v_and_b32_e32 v0, 63, v0                                   // 000000002AE0: 260000BF
	s_mov_b32 s2, s2                                           // 000000002AE4: BE820002
	s_mov_b32 s3, s3                                           // 000000002AE8: BE830003
	s_mov_b32 s4, s4                                           // 000000002AEC: BE840004
	v_readfirstlane_b32 s7, v3                                 // 000000002AF0: 7E0E0503
	s_waitcnt lgkmcnt(0)                                       // 000000002AF4: BF8CC07F
	s_and_b32 s49, s49, 0xffff                                 // 000000002AF8: 8631FF31 0000FFFF
	s_load_dword s48, s[48:49], 0x0                            // 000000002B00: C0020C18 00000000
	s_and_b32 s45, s45, 0xffff                                 // 000000002B08: 862DFF2D 0000FFFF
	s_and_b32 s9, s9, 0xffff                                   // 000000002B10: 8609FF09 0000FFFF
	s_mul_i32 s60, s66, s68                                    // 000000002B18: 923C4442
	s_mul_i32 s61, s66, 4                                      // 000000002B1C: 923D8442
	s_mov_b32 s22, s60                                         // 000000002B20: BE96003C
	s_mov_b32 s26, -16                                         // 000000002B24: BE9A00D0
	s_mov_b32 s30, s61                                         // 000000002B28: BE9E003D
	s_mov_b32 s14, 0x200                                       // 000000002B2C: BE8E00FF 00000200
	s_mov_b32 s38, -16                                         // 000000002B34: BEA600D0
	s_mov_b32 s10, -16                                         // 000000002B38: BE8A00D0
	s_lshr_b32 s60, s64, 7                                     // 000000002B3C: 8F3C8740
	s_mul_i32 s61, s60, 4                                      // 000000002B40: 923D843C
	s_lshr_b32 s60, s65, 7                                     // 000000002B44: 8F3C8741
	s_add_u32 s60, s60, 1                                      // 000000002B48: 803C813C
	s_mul_i32 s60, s60, s61                                    // 000000002B4C: 923C3D3C
	s_mov_b32 s34, s60                                         // 000000002B50: BEA2003C
	s_mov_b32 s23, 0x20000                                     // 000000002B54: BE9700FF 00020000
	s_mov_b32 s27, 0x20000                                     // 000000002B5C: BE9B00FF 00020000
	s_mov_b32 s31, 0x20000                                     // 000000002B64: BE9F00FF 00020000
	s_mov_b32 s35, 0x20000                                     // 000000002B6C: BEA300FF 00020000
	s_mov_b32 s15, 0x20000                                     // 000000002B74: BE8F00FF 00020000
	s_mov_b32 s39, 0x20000                                     // 000000002B7C: BEA700FF 00020000
	s_mov_b32 s11, 0x20000                                     // 000000002B84: BE8B00FF 00020000
	s_and_b32 s21, s21, 0xffff                                 // 000000002B8C: 8615FF15 0000FFFF
	s_and_b32 s25, s25, 0xffff                                 // 000000002B94: 8619FF19 0000FFFF
	s_and_b32 s29, s29, 0xffff                                 // 000000002B9C: 861DFF1D 0000FFFF
	s_and_b32 s33, s33, 0xffff                                 // 000000002BA4: 8621FF21 0000FFFF
	s_and_b32 s13, s13, 0xffff                                 // 000000002BAC: 860DFF0D 0000FFFF
	s_and_b32 s37, s37, 0xffff                                 // 000000002BB4: 8625FF25 0000FFFF
	s_or_b32 s21, s21, 0x40000                                 // 000000002BBC: 8715FF15 00040000
	s_or_b32 s25, s25, 0x40000                                 // 000000002BC4: 8719FF19 00040000
	s_or_b32 s29, s29, 0x40000                                 // 000000002BCC: 871DFF1D 00040000
	s_or_b32 s33, s33, 0x40000                                 // 000000002BD4: 8721FF21 00040000
	s_or_b32 s13, s13, 0x40000                                 // 000000002BDC: 870DFF0D 00040000
	s_or_b32 s37, s37, 0x40000                                 // 000000002BE4: 8725FF25 00040000
	v_accvgpr_write_b32 a159, 0                                // 000000002BEC: D3D9409F 18000080
	v_mov_b32_e32 v207, 0                                      // 000000002BF4: 7F9E0280
	s_waitcnt lgkmcnt(0)                                       // 000000002BF8: BF8CC07F
	s_mul_i32 s60, s3, 0x80                                    // 000000002BFC: 923CFF03 00000080
	s_cmp_lt_i32 s60, s48                                      // 000000002C04: BF04303C
	s_cbranch_scc0 label_3494                                  // 000000002C08: BF84340E
	s_mov_b32 s80, 0                                           // 000000002C0C: BED00080
	s_lshr_b32 s81, s64, s88                                   // 000000002C10: 8F515840
	s_mul_i32 s60, s3, 4                                       // 000000002C14: 923C8403
	s_add_u32 s44, s60, s44                                    // 000000002C18: 802C2C3C
	s_addc_u32 s45, 0, s45                                     // 000000002C1C: 822D2D80
	s_load_dword s5, s[44:45], 0x0                             // 000000002C20: C0020156 00000000
	s_mul_i32 s60, s3, 0x80                                    // 000000002C28: 923CFF03 00000080
	s_mul_i32 s60, 4, s60                                      // 000000002C30: 923C3C84
	s_add_u32 s12, s60, s12                                    // 000000002C34: 800C0C3C
	s_addc_u32 s13, 0, s13                                     // 000000002C38: 820D0D80
	v_and_b32_e32 v4, 15, v0                                   // 000000002C3C: 2608008F
	v_lshlrev_b32_e32 v4, 2, v4                                // 000000002C40: 24080882
	buffer_load_dword v28, v4, s[12:15], 0 offen               // 000000002C44: E0501000 80031C04
	v_add_u32_e32 v4, 64, v4                                   // 000000002C4C: 680808C0
	buffer_load_dword v29, v4, s[12:15], 0 offen               // 000000002C50: E0501000 80031D04
	v_add_u32_e32 v4, 64, v4                                   // 000000002C58: 680808C0
	buffer_load_dword v30, v4, s[12:15], 0 offen               // 000000002C5C: E0501000 80031E04
	v_add_u32_e32 v4, 64, v4                                   // 000000002C64: 680808C0
	buffer_load_dword v31, v4, s[12:15], 0 offen               // 000000002C68: E0501000 80031F04
	v_add_u32_e32 v4, 64, v4                                   // 000000002C70: 680808C0
	buffer_load_dword v32, v4, s[12:15], 0 offen               // 000000002C74: E0501000 80032004
	v_add_u32_e32 v4, 64, v4                                   // 000000002C7C: 680808C0
	buffer_load_dword v33, v4, s[12:15], 0 offen               // 000000002C80: E0501000 80032104
	v_add_u32_e32 v4, 64, v4                                   // 000000002C88: 680808C0
	buffer_load_dword v34, v4, s[12:15], 0 offen               // 000000002C8C: E0501000 80032204
	v_add_u32_e32 v4, 64, v4                                   // 000000002C94: 680808C0
	buffer_load_dword v35, v4, s[12:15], 0 offen               // 000000002C98: E0501000 80032304
	v_add_u32_e32 v4, 64, v4                                   // 000000002CA0: 680808C0
	s_mul_i32 s60, 4, s7                                       // 000000002CA4: 923C0784
	v_lshlrev_b32_e32 v4, 4, v0                                // 000000002CA8: 24080084
	v_add_u32_e32 v4, s60, v4                                  // 000000002CAC: 6808083C
	buffer_load_dword v3, v4, s[12:15], 0 offen                // 000000002CB0: E0501000 80030304
	v_mov_b32_e32 v80, 0                                       // 000000002CB8: 7EA00280
	v_mov_b32_e32 v144, 0                                      // 000000002CBC: 7F200280
	v_mov_b32_e32 v81, 0                                       // 000000002CC0: 7EA20280
	v_mov_b32_e32 v145, 0                                      // 000000002CC4: 7F220280
	v_mov_b32_e32 v82, 0                                       // 000000002CC8: 7EA40280
	v_mov_b32_e32 v146, 0                                      // 000000002CCC: 7F240280
	v_mov_b32_e32 v83, 0                                       // 000000002CD0: 7EA60280
	v_mov_b32_e32 v147, 0                                      // 000000002CD4: 7F260280
	v_mov_b32_e32 v84, 0                                       // 000000002CD8: 7EA80280
	v_mov_b32_e32 v148, 0                                      // 000000002CDC: 7F280280
	v_mov_b32_e32 v85, 0                                       // 000000002CE0: 7EAA0280
	v_mov_b32_e32 v149, 0                                      // 000000002CE4: 7F2A0280
	v_mov_b32_e32 v86, 0                                       // 000000002CE8: 7EAC0280
	v_mov_b32_e32 v150, 0                                      // 000000002CEC: 7F2C0280
	v_mov_b32_e32 v87, 0                                       // 000000002CF0: 7EAE0280
	v_mov_b32_e32 v151, 0                                      // 000000002CF4: 7F2E0280
	v_mov_b32_e32 v88, 0                                       // 000000002CF8: 7EB00280
	v_mov_b32_e32 v152, 0                                      // 000000002CFC: 7F300280
	v_mov_b32_e32 v89, 0                                       // 000000002D00: 7EB20280
	v_mov_b32_e32 v153, 0                                      // 000000002D04: 7F320280
	v_mov_b32_e32 v90, 0                                       // 000000002D08: 7EB40280
	v_mov_b32_e32 v154, 0                                      // 000000002D0C: 7F340280
	v_mov_b32_e32 v91, 0                                       // 000000002D10: 7EB60280
	v_mov_b32_e32 v155, 0                                      // 000000002D14: 7F360280
	v_mov_b32_e32 v92, 0                                       // 000000002D18: 7EB80280
	v_mov_b32_e32 v156, 0                                      // 000000002D1C: 7F380280
	v_mov_b32_e32 v93, 0                                       // 000000002D20: 7EBA0280
	v_mov_b32_e32 v157, 0                                      // 000000002D24: 7F3A0280
	v_mov_b32_e32 v94, 0                                       // 000000002D28: 7EBC0280
	v_mov_b32_e32 v158, 0                                      // 000000002D2C: 7F3C0280
	v_mov_b32_e32 v95, 0                                       // 000000002D30: 7EBE0280
	v_mov_b32_e32 v159, 0                                      // 000000002D34: 7F3E0280
	v_mov_b32_e32 v96, 0                                       // 000000002D38: 7EC00280
	v_mov_b32_e32 v160, 0                                      // 000000002D3C: 7F400280
	v_mov_b32_e32 v97, 0                                       // 000000002D40: 7EC20280
	v_mov_b32_e32 v161, 0                                      // 000000002D44: 7F420280
	v_mov_b32_e32 v98, 0                                       // 000000002D48: 7EC40280
	v_mov_b32_e32 v162, 0                                      // 000000002D4C: 7F440280
	v_mov_b32_e32 v99, 0                                       // 000000002D50: 7EC60280
	v_mov_b32_e32 v163, 0                                      // 000000002D54: 7F460280
	v_mov_b32_e32 v100, 0                                      // 000000002D58: 7EC80280
	v_mov_b32_e32 v164, 0                                      // 000000002D5C: 7F480280
	v_mov_b32_e32 v101, 0                                      // 000000002D60: 7ECA0280
	v_mov_b32_e32 v165, 0                                      // 000000002D64: 7F4A0280
	v_mov_b32_e32 v102, 0                                      // 000000002D68: 7ECC0280
	v_mov_b32_e32 v166, 0                                      // 000000002D6C: 7F4C0280
	v_mov_b32_e32 v103, 0                                      // 000000002D70: 7ECE0280
	v_mov_b32_e32 v167, 0                                      // 000000002D74: 7F4E0280
	v_mov_b32_e32 v104, 0                                      // 000000002D78: 7ED00280
	v_mov_b32_e32 v168, 0                                      // 000000002D7C: 7F500280
	v_mov_b32_e32 v105, 0                                      // 000000002D80: 7ED20280
	v_mov_b32_e32 v169, 0                                      // 000000002D84: 7F520280
	v_mov_b32_e32 v106, 0                                      // 000000002D88: 7ED40280
	v_mov_b32_e32 v170, 0                                      // 000000002D8C: 7F540280
	v_mov_b32_e32 v107, 0                                      // 000000002D90: 7ED60280
	v_mov_b32_e32 v171, 0                                      // 000000002D94: 7F560280
	v_mov_b32_e32 v108, 0                                      // 000000002D98: 7ED80280
	v_mov_b32_e32 v172, 0                                      // 000000002D9C: 7F580280
	v_mov_b32_e32 v109, 0                                      // 000000002DA0: 7EDA0280
	v_mov_b32_e32 v173, 0                                      // 000000002DA4: 7F5A0280
	v_mov_b32_e32 v110, 0                                      // 000000002DA8: 7EDC0280
	v_mov_b32_e32 v174, 0                                      // 000000002DAC: 7F5C0280
	v_mov_b32_e32 v111, 0                                      // 000000002DB0: 7EDE0280
	v_mov_b32_e32 v175, 0                                      // 000000002DB4: 7F5E0280
	v_mov_b32_e32 v112, 0                                      // 000000002DB8: 7EE00280
	v_mov_b32_e32 v176, 0                                      // 000000002DBC: 7F600280
	v_mov_b32_e32 v113, 0                                      // 000000002DC0: 7EE20280
	v_mov_b32_e32 v177, 0                                      // 000000002DC4: 7F620280
	v_mov_b32_e32 v114, 0                                      // 000000002DC8: 7EE40280
	v_mov_b32_e32 v178, 0                                      // 000000002DCC: 7F640280
	v_mov_b32_e32 v115, 0                                      // 000000002DD0: 7EE60280
	v_mov_b32_e32 v179, 0                                      // 000000002DD4: 7F660280
	v_mov_b32_e32 v116, 0                                      // 000000002DD8: 7EE80280
	v_mov_b32_e32 v180, 0                                      // 000000002DDC: 7F680280
	v_mov_b32_e32 v117, 0                                      // 000000002DE0: 7EEA0280
	v_mov_b32_e32 v181, 0                                      // 000000002DE4: 7F6A0280
	v_mov_b32_e32 v118, 0                                      // 000000002DE8: 7EEC0280
	v_mov_b32_e32 v182, 0                                      // 000000002DEC: 7F6C0280
	v_mov_b32_e32 v119, 0                                      // 000000002DF0: 7EEE0280
	v_mov_b32_e32 v183, 0                                      // 000000002DF4: 7F6E0280
	v_mov_b32_e32 v120, 0                                      // 000000002DF8: 7EF00280
	v_mov_b32_e32 v184, 0                                      // 000000002DFC: 7F700280
	v_mov_b32_e32 v121, 0                                      // 000000002E00: 7EF20280
	v_mov_b32_e32 v185, 0                                      // 000000002E04: 7F720280
	v_mov_b32_e32 v122, 0                                      // 000000002E08: 7EF40280
	v_mov_b32_e32 v186, 0                                      // 000000002E0C: 7F740280
	v_mov_b32_e32 v123, 0                                      // 000000002E10: 7EF60280
	v_mov_b32_e32 v187, 0                                      // 000000002E14: 7F760280
	v_mov_b32_e32 v124, 0                                      // 000000002E18: 7EF80280
	v_mov_b32_e32 v188, 0                                      // 000000002E1C: 7F780280
	v_mov_b32_e32 v125, 0                                      // 000000002E20: 7EFA0280
	v_mov_b32_e32 v189, 0                                      // 000000002E24: 7F7A0280
	v_mov_b32_e32 v126, 0                                      // 000000002E28: 7EFC0280
	v_mov_b32_e32 v190, 0                                      // 000000002E2C: 7F7C0280
	v_mov_b32_e32 v127, 0                                      // 000000002E30: 7EFE0280
	v_mov_b32_e32 v191, 0                                      // 000000002E34: 7F7E0280
	v_mov_b32_e32 v128, 0                                      // 000000002E38: 7F000280
	v_mov_b32_e32 v192, 0                                      // 000000002E3C: 7F800280
	v_mov_b32_e32 v129, 0                                      // 000000002E40: 7F020280
	v_mov_b32_e32 v193, 0                                      // 000000002E44: 7F820280
	v_mov_b32_e32 v130, 0                                      // 000000002E48: 7F040280
	v_mov_b32_e32 v194, 0                                      // 000000002E4C: 7F840280
	v_mov_b32_e32 v131, 0                                      // 000000002E50: 7F060280
	v_mov_b32_e32 v195, 0                                      // 000000002E54: 7F860280
	v_mov_b32_e32 v132, 0                                      // 000000002E58: 7F080280
	v_mov_b32_e32 v196, 0                                      // 000000002E5C: 7F880280
	v_mov_b32_e32 v133, 0                                      // 000000002E60: 7F0A0280
	v_mov_b32_e32 v197, 0                                      // 000000002E64: 7F8A0280
	v_mov_b32_e32 v134, 0                                      // 000000002E68: 7F0C0280
	v_mov_b32_e32 v198, 0                                      // 000000002E6C: 7F8C0280
	v_mov_b32_e32 v135, 0                                      // 000000002E70: 7F0E0280
	v_mov_b32_e32 v199, 0                                      // 000000002E74: 7F8E0280
	v_mov_b32_e32 v136, 0                                      // 000000002E78: 7F100280
	v_mov_b32_e32 v200, 0                                      // 000000002E7C: 7F900280
	v_mov_b32_e32 v137, 0                                      // 000000002E80: 7F120280
	v_mov_b32_e32 v201, 0                                      // 000000002E84: 7F920280
	v_mov_b32_e32 v138, 0                                      // 000000002E88: 7F140280
	v_mov_b32_e32 v202, 0                                      // 000000002E8C: 7F940280
	v_mov_b32_e32 v139, 0                                      // 000000002E90: 7F160280
	v_mov_b32_e32 v203, 0                                      // 000000002E94: 7F960280
	v_mov_b32_e32 v140, 0                                      // 000000002E98: 7F180280
	v_mov_b32_e32 v204, 0                                      // 000000002E9C: 7F980280
	v_mov_b32_e32 v141, 0                                      // 000000002EA0: 7F1A0280
	v_mov_b32_e32 v205, 0                                      // 000000002EA4: 7F9A0280
	v_mov_b32_e32 v142, 0                                      // 000000002EA8: 7F1C0280
	v_mov_b32_e32 v206, 0                                      // 000000002EAC: 7F9C0280
	v_mov_b32_e32 v143, 0                                      // 000000002EB0: 7F1E0280
	v_mov_b32_e32 v207, 0                                      // 000000002EB4: 7F9E0280
	s_mul_i32 s60, s2, 0x80                                    // 000000002EB8: 923CFF02 00000080
	s_cmp_eq_u32 s88, 0                                        // 000000002EC0: BF068058
	s_cselect_b32 s61, 1, 4                                    // 000000002EC4: 853D8481
	s_mul_i32 s60, s60, s61                                    // 000000002EC8: 923C3D3C
	s_mov_b32 s90, s8                                          // 000000002ECC: BEDA0008
	s_mov_b32 s91, s9                                          // 000000002ED0: BEDB0009
	s_add_u32 s8, s60, s8                                      // 000000002ED4: 8008083C
	s_addc_u32 s9, 0, s9                                       // 000000002ED8: 82090980
	v_lshrrev_b32_e32 v4, 4, v0                                // 000000002EDC: 20080084
	v_mul_lo_u32 v20, 34, v4                                   // 000000002EE0: D2850014 000208A2
	v_and_b32_e32 v4, 15, v0                                   // 000000002EE8: 2608008F
	v_mul_lo_u32 v5, 2, v4                                     // 000000002EEC: D2850005 00020882
	v_add_u32_e32 v20, v5, v20                                 // 000000002EF4: 68282905
	s_mul_i32 s60, s7, 0x88                                    // 000000002EF8: 923CFF07 00000088
	v_add_u32_e32 v20, s60, v20                                // 000000002F00: 6828283C
	v_lshlrev_b32_e32 v20, 2, v20                              // 000000002F04: 24282882
	v_and_b32_e32 v4, 31, v0                                   // 000000002F08: 2608009F
	v_lshrrev_b32_e32 v4, 1, v4                                // 000000002F0C: 20080881
	v_mul_lo_u32 v21, 34, v4                                   // 000000002F10: D2850015 000208A2
	v_lshrrev_b32_e32 v4, 5, v0                                // 000000002F18: 20080085
	v_mul_lo_u32 v4, 8, v4                                     // 000000002F1C: D2850004 00020888
	v_add_u32_e32 v21, v21, v4                                 // 000000002F24: 682A0915
	v_and_b32_e32 v5, 1, v0                                    // 000000002F28: 260A0081
	v_add_u32_e32 v21, v5, v21                                 // 000000002F2C: 682A2B05
	s_mul_i32 s60, s7, 2                                       // 000000002F30: 923C8207
	v_add_u32_e32 v21, s60, v21                                // 000000002F34: 682A2A3C
	v_lshlrev_b32_e32 v21, 2, v21                              // 000000002F38: 242A2A82
	s_mul_i32 s60, s7, 0x1020                                  // 000000002F3C: 923CFF07 00001020
	s_add_u32 s48, 0, s60                                      // 000000002F44: 80303C80
	s_add_u32 s49, 0x4080, s48                                 // 000000002F48: 803130FF 00004080
	v_lshrrev_b32_e32 v4, 4, v0                                // 000000002F50: 20080084
	v_lshlrev_b32_e32 v5, 2, v4                                // 000000002F54: 240A0882
	v_and_b32_e32 v4, 15, v0                                   // 000000002F58: 2608008F
	v_lshrrev_b32_e32 v6, 2, v4                                // 000000002F5C: 200C0882
	v_lshlrev_b32_e32 v6, 5, v6                                // 000000002F60: 240C0C85
	v_add_u32_e32 v5, v6, v5                                   // 000000002F64: 680A0B06
	v_and_b32_e32 v4, 3, v0                                    // 000000002F68: 26080083
	v_mul_u32_u24_e32 v6, 0x408, v4                            // 000000002F6C: 100C08FF 00000408
	v_add_u32_e32 v5, v6, v5                                   // 000000002F74: 680A0B06
	v_lshlrev_b32_e32 v2, 2, v5                                // 000000002F78: 24040A82
	s_waitcnt lgkmcnt(0)                                       // 000000002F7C: BF8CC07F
	s_mul_i32 s60, s2, 0x80                                    // 000000002F80: 923CFF02 00000080
	s_mul_i32 s60, s60, s69                                    // 000000002F88: 923C453C
	s_mul_i32 s61, s5, s72                                     // 000000002F8C: 923D4805
	s_add_u32 s60, s61, s60                                    // 000000002F90: 803C3C3D
	s_add_u32 s24, s60, s24                                    // 000000002F94: 8018183C
	s_addc_u32 s25, 0, s25                                     // 000000002F98: 82191980
	s_lshr_b32 s60, s64, s88                                   // 000000002F9C: 8F3C5840
	s_mul_i32 s60, s4, s60                                     // 000000002FA0: 923C3C04
	s_lshr_b32 s60, s60, 7                                     // 000000002FA4: 8F3C873C
	s_mul_i32 s60, s60, 0x800                                  // 000000002FA8: 923CFF3C 00000800
	s_add_u32 s24, s60, s24                                    // 000000002FB0: 8018183C
	s_addc_u32 s25, 0, s25                                     // 000000002FB4: 82191980
	s_lshr_b32 s60, s69, s88                                   // 000000002FB8: 8F3C5845
	s_mul_i32 s60, s4, s60                                     // 000000002FBC: 923C3C04
	s_add_u32 s20, s60, s20                                    // 000000002FC0: 8014143C
	s_addc_u32 s21, 0, s21                                     // 000000002FC4: 82151580
	s_mul_i32 s60, s7, 16                                      // 000000002FC8: 923C9007
	s_mul_i32 s60, s60, s69                                    // 000000002FCC: 923C453C
	v_lshlrev_b32_e32 v76, 4, v0                               // 000000002FD0: 24980084
	v_add_u32_e32 v76, s60, v76                                // 000000002FD4: 6898983C
	s_mul_i32 s60, 64, s69                                     // 000000002FD8: 923C45C0
	v_add_u32_e32 v77, s60, v76                                // 000000002FDC: 689A983C
	s_mov_b32 s84, s24                                         // 000000002FE0: BED40018
	s_mov_b32 s85, s25                                         // 000000002FE4: BED50019
	s_mov_b32 s86, s26                                         // 000000002FE8: BED6001A
	s_mov_b32 s87, s27                                         // 000000002FEC: BED7001B
	s_mul_i32 s60, s69, s65                                    // 000000002FF0: 923C4145
	s_add_u32 s84, s60, s84                                    // 000000002FF4: 8054543C
	s_addc_u32 s85, 0, s85                                     // 000000002FF8: 82555580
	s_lshr_b32 s60, s64, 7                                     // 000000002FFC: 8F3C8740
	s_mul_i32 s61, s60, 4                                      // 000000003000: 923D843C
	v_and_b32_e32 v22, 15, v0                                  // 000000003004: 262C008F
	v_mul_lo_u32 v22, v22, s61                                 // 000000003008: D2850016 00007B16
	s_lshr_b32 s60, s65, 7                                     // 000000003010: 8F3C8741
	s_mul_i32 s60, s60, s61                                    // 000000003014: 923C3D3C
	v_add_u32_e64 v23, v22, s60                                // 000000003018: D1340017 00007916
	s_mul_i32 s60, s2, 1                                       // 000000003020: 923C8102
	s_mul_i32 s60, s60, s61                                    // 000000003024: 923C3D3C
	s_mul_i32 s61, s5, s74                                     // 000000003028: 923D4A05
	s_add_u32 s61, s61, s60                                    // 00000000302C: 803D3C3D
	s_add_u32 s32, s61, s32                                    // 000000003030: 8020203D
	s_addc_u32 s33, 0, s33                                     // 000000003034: 82212180
	s_lshr_b32 s60, s64, 7                                     // 000000003038: 8F3C8740
	s_lshr_b32 s60, s60, s88                                   // 00000000303C: 8F3C583C
	s_mul_i32 s60, s4, s60                                     // 000000003040: 923C3C04
	s_mul_i32 s61, s60, 4                                      // 000000003044: 923D843C
	s_add_u32 s32, s61, s32                                    // 000000003048: 8020203D
	s_addc_u32 s33, 0, s33                                     // 00000000304C: 82212180
	s_lshl_b32 s62, s66, 2                                     // 000000003050: 8E3E8242
	s_mul_i32 s62, s60, s62                                    // 000000003054: 923E3E3C
	s_add_u32 s28, s62, s28                                    // 000000003058: 801C1C3E
	s_addc_u32 s29, 0, s29                                     // 00000000305C: 821D1D80
	s_mov_b32 s4, 4                                            // 000000003060: BE840084
	s_mov_b32 s57, 0x80                                        // 000000003064: BEB900FF 00000080
	s_mov_b32 s58, 0x800                                       // 00000000306C: BEBA00FF 00000800
	s_mov_b32 s83, s58                                         // 000000003074: BED3003A
	s_mov_b32 s52, 0x7060302                                   // 000000003078: BEB400FF 07060302
	s_mov_b32 s53, 0x400                                       // 000000003080: BEB500FF 00000400
	s_mov_b32 s54, 0x40100                                     // 000000003088: BEB600FF 00040100
	s_mov_b32 s55, 0x4020100                                   // 000000003090: BEB700FF 04020100
	s_mov_b32 s6, 0x3fb8aa3b                                   // 000000003098: BE8600FF 3FB8AA3B
	s_mov_b32 s78, 0xbd92220c                                  // 0000000030A0: BECE00FF BD92220C
	s_mov_b32 s79, 0xbd92220c                                  // 0000000030A8: BECF00FF BD92220C
	s_mov_b32 m0, s48                                          // 0000000030B0: BEFC0030
	v_mov_b32_e32 v1, 0xbfcc4231                               // 0000000030B4: 7E0202FF BFCC4231
	v_mov_b32_e32 v17, 0xffff0000                              // 0000000030BC: 7E2202FF FFFF0000
	v_mov_b32_e32 v18, 0x7fff0000                              // 0000000030C4: 7E2402FF 7FFF0000
	v_mov_b32_e32 v19, 0x7fff                                  // 0000000030CC: 7E2602FF 00007FFF
	s_waitcnt vmcnt(0) expcnt(0) lgkmcnt(0)                    // 0000000030D4: BF8C0000
	v_lshrrev_b32_e32 v4, 5, v0                                // 0000000030D8: 20080085
	v_xor_b32_e32 v5, 1, v4                                    // 0000000030DC: 2A0A0881
	v_readlane_b32 s82, v3, 0                                  // 0000000030E0: D2890052 00010103
	s_and_b32 s82, s82, 0xffffff                               // 0000000030E8: 8652FF52 00FFFFFF
	v_mul_lo_u32 v6, v5, s82                                   // 0000000030F0: D2850006 0000A505
	v_readlane_b32 s82, v3, 1                                  // 0000000030F8: D2890052 00010303
	s_and_b32 s82, s82, 0xffffff                               // 000000003100: 8652FF52 00FFFFFF
	v_mul_lo_u32 v7, v4, s82                                   // 000000003108: D2850007 0000A504
	v_add_u32_e32 v60, v6, v7                                  // 000000003110: 68780F06
	v_mul_lo_u32 v60, v60, s68                                 // 000000003114: D285003C 0000893C
	v_readlane_b32 s82, v3, 2                                  // 00000000311C: D2890052 00010503
	s_and_b32 s82, s82, 0xffffff                               // 000000003124: 8652FF52 00FFFFFF
	v_mul_lo_u32 v6, v5, s82                                   // 00000000312C: D2850006 0000A505
	v_readlane_b32 s82, v3, 3                                  // 000000003134: D2890052 00010703
	s_and_b32 s82, s82, 0xffffff                               // 00000000313C: 8652FF52 00FFFFFF
	v_mul_lo_u32 v7, v4, s82                                   // 000000003144: D2850007 0000A504
	v_add_u32_e32 v61, v6, v7                                  // 00000000314C: 687A0F06
	v_mul_lo_u32 v61, v61, s68                                 // 000000003150: D285003D 0000893D
	v_readlane_b32 s82, v3, 4                                  // 000000003158: D2890052 00010903
	s_and_b32 s82, s82, 0xffffff                               // 000000003160: 8652FF52 00FFFFFF
	v_mul_lo_u32 v6, v5, s82                                   // 000000003168: D2850006 0000A505
	v_readlane_b32 s82, v3, 5                                  // 000000003170: D2890052 00010B03
	s_and_b32 s82, s82, 0xffffff                               // 000000003178: 8652FF52 00FFFFFF
	v_mul_lo_u32 v7, v4, s82                                   // 000000003180: D2850007 0000A504
	v_add_u32_e32 v62, v6, v7                                  // 000000003188: 687C0F06
	v_mul_lo_u32 v62, v62, s68                                 // 00000000318C: D285003E 0000893E
	v_readlane_b32 s82, v3, 6                                  // 000000003194: D2890052 00010D03
	s_and_b32 s82, s82, 0xffffff                               // 00000000319C: 8652FF52 00FFFFFF
	v_mul_lo_u32 v6, v5, s82                                   // 0000000031A4: D2850006 0000A505
	v_readlane_b32 s82, v3, 7                                  // 0000000031AC: D2890052 00010F03
	s_and_b32 s82, s82, 0xffffff                               // 0000000031B4: 8652FF52 00FFFFFF
	v_mul_lo_u32 v7, v4, s82                                   // 0000000031BC: D2850007 0000A504
	v_add_u32_e32 v63, v6, v7                                  // 0000000031C4: 687E0F06
	v_mul_lo_u32 v63, v63, s68                                 // 0000000031C8: D285003F 0000893F
	v_readlane_b32 s82, v3, 8                                  // 0000000031D0: D2890052 00011103
	s_and_b32 s82, s82, 0xffffff                               // 0000000031D8: 8652FF52 00FFFFFF
	v_mul_lo_u32 v6, v5, s82                                   // 0000000031E0: D2850006 0000A505
	v_readlane_b32 s82, v3, 9                                  // 0000000031E8: D2890052 00011303
	s_and_b32 s82, s82, 0xffffff                               // 0000000031F0: 8652FF52 00FFFFFF
	v_mul_lo_u32 v7, v4, s82                                   // 0000000031F8: D2850007 0000A504
	v_add_u32_e32 v64, v6, v7                                  // 000000003200: 68800F06
	v_mul_lo_u32 v64, v64, s68                                 // 000000003204: D2850040 00008940
	v_readlane_b32 s82, v3, 10                                 // 00000000320C: D2890052 00011503
	s_and_b32 s82, s82, 0xffffff                               // 000000003214: 8652FF52 00FFFFFF
	v_mul_lo_u32 v6, v5, s82                                   // 00000000321C: D2850006 0000A505
	v_readlane_b32 s82, v3, 11                                 // 000000003224: D2890052 00011703
	s_and_b32 s82, s82, 0xffffff                               // 00000000322C: 8652FF52 00FFFFFF
	v_mul_lo_u32 v7, v4, s82                                   // 000000003234: D2850007 0000A504
	v_add_u32_e32 v65, v6, v7                                  // 00000000323C: 68820F06
	v_mul_lo_u32 v65, v65, s68                                 // 000000003240: D2850041 00008941
	v_readlane_b32 s82, v3, 12                                 // 000000003248: D2890052 00011903
	s_and_b32 s82, s82, 0xffffff                               // 000000003250: 8652FF52 00FFFFFF
	v_mul_lo_u32 v6, v5, s82                                   // 000000003258: D2850006 0000A505
	v_readlane_b32 s82, v3, 13                                 // 000000003260: D2890052 00011B03
	s_and_b32 s82, s82, 0xffffff                               // 000000003268: 8652FF52 00FFFFFF
	v_mul_lo_u32 v7, v4, s82                                   // 000000003270: D2850007 0000A504
	v_add_u32_e32 v66, v6, v7                                  // 000000003278: 68840F06
	v_mul_lo_u32 v66, v66, s68                                 // 00000000327C: D2850042 00008942
	v_readlane_b32 s82, v3, 14                                 // 000000003284: D2890052 00011D03
	s_and_b32 s82, s82, 0xffffff                               // 00000000328C: 8652FF52 00FFFFFF
	v_mul_lo_u32 v6, v5, s82                                   // 000000003294: D2850006 0000A505
	v_readlane_b32 s82, v3, 15                                 // 00000000329C: D2890052 00011F03
	s_and_b32 s82, s82, 0xffffff                               // 0000000032A4: 8652FF52 00FFFFFF
	v_mul_lo_u32 v7, v4, s82                                   // 0000000032AC: D2850007 0000A504
	v_add_u32_e32 v67, v6, v7                                  // 0000000032B4: 68860F06
	v_mul_lo_u32 v67, v67, s68                                 // 0000000032B8: D2850043 00008943
	v_readlane_b32 s82, v3, 16                                 // 0000000032C0: D2890052 00012103
	s_and_b32 s82, s82, 0xffffff                               // 0000000032C8: 8652FF52 00FFFFFF
	v_mul_lo_u32 v6, v5, s82                                   // 0000000032D0: D2850006 0000A505
	v_readlane_b32 s82, v3, 17                                 // 0000000032D8: D2890052 00012303
	s_and_b32 s82, s82, 0xffffff                               // 0000000032E0: 8652FF52 00FFFFFF
	v_mul_lo_u32 v7, v4, s82                                   // 0000000032E8: D2850007 0000A504
	v_add_u32_e32 v68, v6, v7                                  // 0000000032F0: 68880F06
	v_mul_lo_u32 v68, v68, s68                                 // 0000000032F4: D2850044 00008944
	v_readlane_b32 s82, v3, 18                                 // 0000000032FC: D2890052 00012503
	s_and_b32 s82, s82, 0xffffff                               // 000000003304: 8652FF52 00FFFFFF
	v_mul_lo_u32 v6, v5, s82                                   // 00000000330C: D2850006 0000A505
	v_readlane_b32 s82, v3, 19                                 // 000000003314: D2890052 00012703
	s_and_b32 s82, s82, 0xffffff                               // 00000000331C: 8652FF52 00FFFFFF
	v_mul_lo_u32 v7, v4, s82                                   // 000000003324: D2850007 0000A504
	v_add_u32_e32 v69, v6, v7                                  // 00000000332C: 688A0F06
	v_mul_lo_u32 v69, v69, s68                                 // 000000003330: D2850045 00008945
	v_readlane_b32 s82, v3, 20                                 // 000000003338: D2890052 00012903
	s_and_b32 s82, s82, 0xffffff                               // 000000003340: 8652FF52 00FFFFFF
	v_mul_lo_u32 v6, v5, s82                                   // 000000003348: D2850006 0000A505
	v_readlane_b32 s82, v3, 21                                 // 000000003350: D2890052 00012B03
	s_and_b32 s82, s82, 0xffffff                               // 000000003358: 8652FF52 00FFFFFF
	v_mul_lo_u32 v7, v4, s82                                   // 000000003360: D2850007 0000A504
	v_add_u32_e32 v70, v6, v7                                  // 000000003368: 688C0F06
	v_mul_lo_u32 v70, v70, s68                                 // 00000000336C: D2850046 00008946
	v_readlane_b32 s82, v3, 22                                 // 000000003374: D2890052 00012D03
	s_and_b32 s82, s82, 0xffffff                               // 00000000337C: 8652FF52 00FFFFFF
	v_mul_lo_u32 v6, v5, s82                                   // 000000003384: D2850006 0000A505
	v_readlane_b32 s82, v3, 23                                 // 00000000338C: D2890052 00012F03
	s_and_b32 s82, s82, 0xffffff                               // 000000003394: 8652FF52 00FFFFFF
	v_mul_lo_u32 v7, v4, s82                                   // 00000000339C: D2850007 0000A504
	v_add_u32_e32 v71, v6, v7                                  // 0000000033A4: 688E0F06
	v_mul_lo_u32 v71, v71, s68                                 // 0000000033A8: D2850047 00008947
	v_readlane_b32 s82, v3, 24                                 // 0000000033B0: D2890052 00013103
	s_and_b32 s82, s82, 0xffffff                               // 0000000033B8: 8652FF52 00FFFFFF
	v_mul_lo_u32 v6, v5, s82                                   // 0000000033C0: D2850006 0000A505
	v_readlane_b32 s82, v3, 25                                 // 0000000033C8: D2890052 00013303
	s_and_b32 s82, s82, 0xffffff                               // 0000000033D0: 8652FF52 00FFFFFF
	v_mul_lo_u32 v7, v4, s82                                   // 0000000033D8: D2850007 0000A504
	v_add_u32_e32 v72, v6, v7                                  // 0000000033E0: 68900F06
	v_mul_lo_u32 v72, v72, s68                                 // 0000000033E4: D2850048 00008948
	v_readlane_b32 s82, v3, 26                                 // 0000000033EC: D2890052 00013503
	s_and_b32 s82, s82, 0xffffff                               // 0000000033F4: 8652FF52 00FFFFFF
	v_mul_lo_u32 v6, v5, s82                                   // 0000000033FC: D2850006 0000A505
	v_readlane_b32 s82, v3, 27                                 // 000000003404: D2890052 00013703
	s_and_b32 s82, s82, 0xffffff                               // 00000000340C: 8652FF52 00FFFFFF
	v_mul_lo_u32 v7, v4, s82                                   // 000000003414: D2850007 0000A504
	v_add_u32_e32 v73, v6, v7                                  // 00000000341C: 68920F06
	v_mul_lo_u32 v73, v73, s68                                 // 000000003420: D2850049 00008949
	v_readlane_b32 s82, v3, 28                                 // 000000003428: D2890052 00013903
	s_and_b32 s82, s82, 0xffffff                               // 000000003430: 8652FF52 00FFFFFF
	v_mul_lo_u32 v6, v5, s82                                   // 000000003438: D2850006 0000A505
	v_readlane_b32 s82, v3, 29                                 // 000000003440: D2890052 00013B03
	s_and_b32 s82, s82, 0xffffff                               // 000000003448: 8652FF52 00FFFFFF
	v_mul_lo_u32 v7, v4, s82                                   // 000000003450: D2850007 0000A504
	v_add_u32_e32 v74, v6, v7                                  // 000000003458: 68940F06
	v_mul_lo_u32 v74, v74, s68                                 // 00000000345C: D285004A 0000894A
	v_readlane_b32 s82, v3, 30                                 // 000000003464: D2890052 00013D03
	s_and_b32 s82, s82, 0xffffff                               // 00000000346C: 8652FF52 00FFFFFF
	v_mul_lo_u32 v6, v5, s82                                   // 000000003474: D2850006 0000A505
	v_readlane_b32 s82, v3, 31                                 // 00000000347C: D2890052 00013F03
	s_and_b32 s82, s82, 0xffffff                               // 000000003484: 8652FF52 00FFFFFF
	v_mul_lo_u32 v7, v4, s82                                   // 00000000348C: D2850007 0000A504
	v_add_u32_e32 v75, v6, v7                                  // 000000003494: 68960F06
	v_mul_lo_u32 v75, v75, s68                                 // 000000003498: D285004B 0000894B
	v_and_b32_e32 v4, 31, v0                                   // 0000000034A0: 2608009F
	v_lshlrev_b32_e32 v4, 2, v4                                // 0000000034A4: 24080882
	v_add_u32_e32 v60, v60, v4                                 // 0000000034A8: 6878093C
	v_add_u32_e32 v61, v61, v4                                 // 0000000034AC: 687A093D
	v_add_u32_e32 v62, v62, v4                                 // 0000000034B0: 687C093E
	v_add_u32_e32 v63, v63, v4                                 // 0000000034B4: 687E093F
	v_add_u32_e32 v64, v64, v4                                 // 0000000034B8: 68800940
	v_add_u32_e32 v65, v65, v4                                 // 0000000034BC: 68820941
	v_add_u32_e32 v66, v66, v4                                 // 0000000034C0: 68840942
	v_add_u32_e32 v67, v67, v4                                 // 0000000034C4: 68860943
	v_add_u32_e32 v68, v68, v4                                 // 0000000034C8: 68880944
	v_add_u32_e32 v69, v69, v4                                 // 0000000034CC: 688A0945
	v_add_u32_e32 v70, v70, v4                                 // 0000000034D0: 688C0946
	v_add_u32_e32 v71, v71, v4                                 // 0000000034D4: 688E0947
	v_add_u32_e32 v72, v72, v4                                 // 0000000034D8: 68900948
	v_add_u32_e32 v73, v73, v4                                 // 0000000034DC: 68920949
	v_add_u32_e32 v74, v74, v4                                 // 0000000034E0: 6894094A
	v_add_u32_e32 v75, v75, v4                                 // 0000000034E4: 6896094B
	v_and_b32_e32 v28, 0xffffff, v28                           // 0000000034E8: 263838FF 00FFFFFF
	v_lshlrev_b32_e32 v28, 2, v28                              // 0000000034F0: 24383882
	v_and_b32_e32 v29, 0xffffff, v29                           // 0000000034F4: 263A3AFF 00FFFFFF
	v_lshlrev_b32_e32 v29, 2, v29                              // 0000000034FC: 243A3A82
	v_and_b32_e32 v30, 0xffffff, v30                           // 000000003500: 263C3CFF 00FFFFFF
	v_lshlrev_b32_e32 v30, 2, v30                              // 000000003508: 243C3C82
	v_and_b32_e32 v31, 0xffffff, v31                           // 00000000350C: 263E3EFF 00FFFFFF
	v_lshlrev_b32_e32 v31, 2, v31                              // 000000003514: 243E3E82
	v_and_b32_e32 v32, 0xffffff, v32                           // 000000003518: 264040FF 00FFFFFF
	v_lshlrev_b32_e32 v32, 2, v32                              // 000000003520: 24404082
	v_and_b32_e32 v33, 0xffffff, v33                           // 000000003524: 264242FF 00FFFFFF
	v_lshlrev_b32_e32 v33, 2, v33                              // 00000000352C: 24424282
	v_and_b32_e32 v34, 0xffffff, v34                           // 000000003530: 264444FF 00FFFFFF
	v_lshlrev_b32_e32 v34, 2, v34                              // 000000003538: 24444482
	v_and_b32_e32 v35, 0xffffff, v35                           // 00000000353C: 264646FF 00FFFFFF
	v_lshlrev_b32_e32 v35, 2, v35                              // 000000003544: 24464682
	s_lshl_b32 s3, s66, 2                                      // 000000003548: 8E038242
	buffer_load_dword v60, s[20:23], 0 offen lds               // 00000000354C: E0511000 8005003C
	s_add_u32 m0, 0x100, s48                                   // 000000003554: 807C30FF 00000100
	buffer_load_dword v61, s[20:23], 0 offen lds               // 00000000355C: E0511000 8005003D
	s_add_u32 m0, 0x200, s48                                   // 000000003564: 807C30FF 00000200
	buffer_load_dword v62, s[20:23], 0 offen lds               // 00000000356C: E0511000 8005003E
	s_add_u32 m0, 0x300, s48                                   // 000000003574: 807C30FF 00000300
	buffer_load_dword v63, s[20:23], 0 offen lds               // 00000000357C: E0511000 8005003F
	s_add_u32 m0, 0x400, s48                                   // 000000003584: 807C30FF 00000400
	buffer_load_dword v64, s[20:23], 0 offen lds               // 00000000358C: E0511000 80050040
	s_add_u32 m0, 0x500, s48                                   // 000000003594: 807C30FF 00000500
	buffer_load_dword v65, s[20:23], 0 offen lds               // 00000000359C: E0511000 80050041
	s_add_u32 m0, 0x600, s48                                   // 0000000035A4: 807C30FF 00000600
	buffer_load_dword v66, s[20:23], 0 offen lds               // 0000000035AC: E0511000 80050042
	s_add_u32 m0, 0x700, s48                                   // 0000000035B4: 807C30FF 00000700
	buffer_load_dword v67, s[20:23], 0 offen lds               // 0000000035BC: E0511000 80050043
	s_add_u32 m0, 0x800, s48                                   // 0000000035C4: 807C30FF 00000800
	buffer_load_dword v68, s[20:23], 0 offen lds               // 0000000035CC: E0511000 80050044
	s_add_u32 m0, 0x900, s48                                   // 0000000035D4: 807C30FF 00000900
	buffer_load_dword v69, s[20:23], 0 offen lds               // 0000000035DC: E0511000 80050045
	s_add_u32 m0, 0xa00, s48                                   // 0000000035E4: 807C30FF 00000A00
	buffer_load_dword v70, s[20:23], 0 offen lds               // 0000000035EC: E0511000 80050046
	s_add_u32 m0, 0xb00, s48                                   // 0000000035F4: 807C30FF 00000B00
	buffer_load_dword v71, s[20:23], 0 offen lds               // 0000000035FC: E0511000 80050047
	s_add_u32 m0, 0xc00, s48                                   // 000000003604: 807C30FF 00000C00
	buffer_load_dword v72, s[20:23], 0 offen lds               // 00000000360C: E0511000 80050048
	s_add_u32 m0, 0xd00, s48                                   // 000000003614: 807C30FF 00000D00
	buffer_load_dword v73, s[20:23], 0 offen lds               // 00000000361C: E0511000 80050049
	s_add_u32 m0, 0xe00, s48                                   // 000000003624: 807C30FF 00000E00
	buffer_load_dword v74, s[20:23], 0 offen lds               // 00000000362C: E0511000 8005004A
	s_add_u32 m0, 0xf00, s48                                   // 000000003634: 807C30FF 00000F00
	buffer_load_dword v75, s[20:23], 0 offen lds               // 00000000363C: E0511000 8005004B
	s_add_u32 m0, 0, s49                                       // 000000003644: 807C3180
	s_add_u32 s20, s57, s20                                    // 000000003648: 80141439
	s_addc_u32 s21, 0, s21                                     // 00000000364C: 82151580
	buffer_load_dword v36, v28, s[28:31], 0 offen              // 000000003650: E0501000 8007241C
	buffer_load_dword v37, v29, s[28:31], 0 offen              // 000000003658: E0501000 8007251D
	buffer_load_dword v38, v30, s[28:31], 0 offen              // 000000003660: E0501000 8007261E
	buffer_load_dword v39, v31, s[28:31], 0 offen              // 000000003668: E0501000 8007271F
	buffer_load_dword v40, v32, s[28:31], 0 offen              // 000000003670: E0501000 80072820
	buffer_load_dword v41, v33, s[28:31], 0 offen              // 000000003678: E0501000 80072921
	buffer_load_dword v42, v34, s[28:31], 0 offen              // 000000003680: E0501000 80072A22
	buffer_load_dword v43, v35, s[28:31], 0 offen              // 000000003688: E0501000 80072B23
	s_add_u32 s28, s3, s28                                     // 000000003690: 801C1C03
	s_addc_u32 s29, 0, s29                                     // 000000003694: 821D1D80
	buffer_load_dword v60, s[20:23], 0 offen lds               // 000000003698: E0511000 8005003C
	s_add_u32 m0, 0x100, s49                                   // 0000000036A0: 807C31FF 00000100
	buffer_load_dword v61, s[20:23], 0 offen lds               // 0000000036A8: E0511000 8005003D
	s_add_u32 m0, 0x200, s49                                   // 0000000036B0: 807C31FF 00000200
	buffer_load_dword v62, s[20:23], 0 offen lds               // 0000000036B8: E0511000 8005003E
	s_add_u32 m0, 0x300, s49                                   // 0000000036C0: 807C31FF 00000300
	buffer_load_dword v63, s[20:23], 0 offen lds               // 0000000036C8: E0511000 8005003F
	s_add_u32 m0, 0x400, s49                                   // 0000000036D0: 807C31FF 00000400
	buffer_load_dword v64, s[20:23], 0 offen lds               // 0000000036D8: E0511000 80050040
	s_add_u32 m0, 0x500, s49                                   // 0000000036E0: 807C31FF 00000500
	buffer_load_dword v65, s[20:23], 0 offen lds               // 0000000036E8: E0511000 80050041
	s_add_u32 m0, 0x600, s49                                   // 0000000036F0: 807C31FF 00000600
	buffer_load_dword v66, s[20:23], 0 offen lds               // 0000000036F8: E0511000 80050042
	s_add_u32 m0, 0x700, s49                                   // 000000003700: 807C31FF 00000700
	buffer_load_dword v67, s[20:23], 0 offen lds               // 000000003708: E0511000 80050043
	s_add_u32 m0, 0x800, s49                                   // 000000003710: 807C31FF 00000800
	buffer_load_dword v68, s[20:23], 0 offen lds               // 000000003718: E0511000 80050044
	;; [unrolled: 2-line block ×3, first 2 shown]
	s_add_u32 m0, 0xa00, s49                                   // 000000003730: 807C31FF 00000A00
	buffer_load_dword v70, s[20:23], 0 offen lds               // 000000003738: E0511000 80050046
	s_add_u32 m0, 0xb00, s49                                   // 000000003740: 807C31FF 00000B00
	buffer_load_dword v71, s[20:23], 0 offen lds               // 000000003748: E0511000 80050047
	s_add_u32 m0, 0xc00, s49                                   // 000000003750: 807C31FF 00000C00
	buffer_load_dword v72, s[20:23], 0 offen lds               // 000000003758: E0511000 80050048
	s_add_u32 m0, 0xd00, s49                                   // 000000003760: 807C31FF 00000D00
	buffer_load_dword v73, s[20:23], 0 offen lds               // 000000003768: E0511000 80050049
	s_add_u32 m0, 0xe00, s49                                   // 000000003770: 807C31FF 00000E00
	buffer_load_dword v74, s[20:23], 0 offen lds               // 000000003778: E0511000 8005004A
	s_add_u32 m0, 0xf00, s49                                   // 000000003780: 807C31FF 00000F00
	buffer_load_dword v75, s[20:23], 0 offen lds               // 000000003788: E0511000 8005004B
	s_add_u32 m0, 0, s48                                       // 000000003790: 807C3080
	s_add_u32 s20, s57, s20                                    // 000000003794: 80141439
	s_addc_u32 s21, 0, s21                                     // 000000003798: 82151580
	buffer_load_dword v44, v28, s[28:31], 0 offen              // 00000000379C: E0501000 80072C1C
	buffer_load_dword v45, v29, s[28:31], 0 offen              // 0000000037A4: E0501000 80072D1D
	buffer_load_dword v46, v30, s[28:31], 0 offen              // 0000000037AC: E0501000 80072E1E
	buffer_load_dword v47, v31, s[28:31], 0 offen              // 0000000037B4: E0501000 80072F1F
	buffer_load_dword v48, v32, s[28:31], 0 offen              // 0000000037BC: E0501000 80073020
	buffer_load_dword v49, v33, s[28:31], 0 offen              // 0000000037C4: E0501000 80073121
	buffer_load_dword v50, v34, s[28:31], 0 offen              // 0000000037CC: E0501000 80073222
	buffer_load_dword v51, v35, s[28:31], 0 offen              // 0000000037D4: E0501000 80073323
	s_add_u32 s28, s3, s28                                     // 0000000037DC: 801C1C03
	s_addc_u32 s29, 0, s29                                     // 0000000037E0: 821D1D80
	buffer_load_dword v24, v22, s[32:35], 0 offen              // 0000000037E4: E0501000 80081816
	buffer_load_dwordx4 a[128:131], v76, s[24:27], 0 offen     // 0000000037EC: E05C1000 8086804C
	buffer_load_dwordx4 a[132:135], v76, s[24:27], 0 offen offset:1024// 0000000037F4: E05C1400 8086844C
	buffer_load_dwordx4 a[136:139], v77, s[24:27], 0 offen     // 0000000037FC: E05C1000 8086884D
	buffer_load_dwordx4 a[140:143], v77, s[24:27], 0 offen offset:1024// 000000003804: E05C1400 80868C4D
	s_add_u32 s24, s58, s24                                    // 00000000380C: 8018183A
	s_addc_u32 s25, 0, s25                                     // 000000003810: 82191980
	s_waitcnt vmcnt(37)                                        // 000000003814: BF8C8F75
	s_barrier                                                  // 000000003818: BF8A0000
	ds_read_b128 a[0:3], v2                                    // 00000000381C: DBFE0000 00000002
	ds_read_b128 a[4:7], v2 offset:64                          // 000000003824: DBFE0040 04000002
	ds_read_b128 a[8:11], v2 offset:512                        // 00000000382C: DBFE0200 08000002
	ds_read_b128 a[12:15], v2 offset:576                       // 000000003834: DBFE0240 0C000002
	ds_read_b128 a[16:19], v2 offset:1024                      // 00000000383C: DBFE0400 10000002
	ds_read_b128 a[20:23], v2 offset:1088                      // 000000003844: DBFE0440 14000002
	ds_read_b128 a[24:27], v2 offset:1536                      // 00000000384C: DBFE0600 18000002
	ds_read_b128 a[28:31], v2 offset:1600                      // 000000003854: DBFE0640 1C000002
	ds_read_b128 a[32:35], v2 offset:2048                      // 00000000385C: DBFE0800 20000002
	ds_read_b128 a[36:39], v2 offset:2112                      // 000000003864: DBFE0840 24000002
	ds_read_b128 a[40:43], v2 offset:2560                      // 00000000386C: DBFE0A00 28000002
	ds_read_b128 a[44:47], v2 offset:2624                      // 000000003874: DBFE0A40 2C000002
	ds_read_b128 a[48:51], v2 offset:3072                      // 00000000387C: DBFE0C00 30000002
	ds_read_b128 a[52:55], v2 offset:3136                      // 000000003884: DBFE0C40 34000002
	ds_read_b128 a[56:59], v2 offset:3584                      // 00000000388C: DBFE0E00 38000002
	ds_read_b128 a[60:63], v2 offset:3648                      // 000000003894: DBFE0E40 3C000002
	s_cmp_lt_i32 s7, 2                                         // 00000000389C: BF048207
	s_cbranch_scc0 label_1C20                                  // 0000000038A0: BF841874

00000000000038a4 <label_03A9>:
	s_waitcnt vmcnt(2) lgkmcnt(0)                              // 0000000038A4: BF8C0072
	s_barrier                                                  // 0000000038A8: BF8A0000
	v_mov_b32_e32 v52, v36                                     // 0000000038AC: 7E680324
	v_mov_b32_e32 v53, v37                                     // 0000000038B0: 7E6A0325
	v_mov_b32_e32 v54, v38                                     // 0000000038B4: 7E6C0326
	v_mov_b32_e32 v55, v39                                     // 0000000038B8: 7E6E0327
	v_mov_b32_e32 v56, v40                                     // 0000000038BC: 7E700328
	v_mov_b32_e32 v57, v41                                     // 0000000038C0: 7E720329
	v_mov_b32_e32 v58, v42                                     // 0000000038C4: 7E74032A
	v_mov_b32_e32 v59, v43                                     // 0000000038C8: 7E76032B
	v_mul_f32_dpp v4, v24, v52 row_newbcast:0 row_mask:0xf bank_mask:0xf// 0000000038CC: 0A0868FA FF015018
	v_mfma_f32_16x16x32_fp8_fp8 v[8:11], a[128:129], a[0:1], 0 // 0000000038D4: D3F30008 1A020180
	buffer_load_dword v27, v23, s[32:35], 0 offen              // 0000000038DC: E0501000 80081B17
	v_mfma_f32_16x16x32_fp8_fp8 v[8:11], a[130:131], a[2:3], v[8:11]// 0000000038E4: D3F30008 1C220582
	buffer_load_dwordx4 a[144:147], v76, s[84:87], 0 offen     // 0000000038EC: E05C1000 8095904C
	v_mfma_f32_16x16x32_fp8_fp8 v[8:11], a[132:133], a[4:5], v[8:11]// 0000000038F4: D3F30008 1C220984
	v_mfma_f32_16x16x32_fp8_fp8 v[8:11], a[134:135], a[6:7], v[8:11]// 0000000038FC: D3F30008 1C220D86
	v_mul_f32_dpp v6, v24, v53 row_newbcast:0 row_mask:0xf bank_mask:0xf// 000000003904: 0A0C6AFA FF015018
	v_mfma_f32_16x16x32_fp8_fp8 v[12:15], a[128:129], a[8:9], 0// 00000000390C: D3F3000C 1A021180
	v_mfma_f32_16x16x32_fp8_fp8 v[12:15], a[130:131], a[10:11], v[12:15]// 000000003914: D3F3000C 1C321582
	buffer_load_dwordx4 a[148:151], v76, s[84:87], 0 offen offset:1024// 00000000391C: E05C1400 8095944C
	v_mfma_f32_16x16x32_fp8_fp8 v[12:15], a[132:133], a[12:13], v[12:15]// 000000003924: D3F3000C 1C321984
	v_mfma_f32_16x16x32_fp8_fp8 v[12:15], a[134:135], a[14:15], v[12:15]// 00000000392C: D3F3000C 1C321D86
	v_fma_f32 v80, v8, v4, v80                                 // 000000003934: D1CB0050 05420908
	v_fma_f32 v81, v9, v4, v81                                 // 00000000393C: D1CB0051 05460909
	v_fma_f32 v82, v10, v4, v82                                // 000000003944: D1CB0052 054A090A
	v_fma_f32 v83, v11, v4, v83                                // 00000000394C: D1CB0053 054E090B
	v_mul_f32_dpp v4, v24, v54 row_newbcast:0 row_mask:0xf bank_mask:0xf// 000000003954: 0A086CFA FF015018
	v_mfma_f32_16x16x32_fp8_fp8 v[8:11], a[128:129], a[16:17], 0// 00000000395C: D3F30008 1A022180
	v_mfma_f32_16x16x32_fp8_fp8 v[8:11], a[130:131], a[18:19], v[8:11]// 000000003964: D3F30008 1C222582
	buffer_load_dwordx4 a[152:155], v77, s[84:87], 0 offen     // 00000000396C: E05C1000 8095984D
	v_mfma_f32_16x16x32_fp8_fp8 v[8:11], a[132:133], a[20:21], v[8:11]// 000000003974: D3F30008 1C222984
	v_mfma_f32_16x16x32_fp8_fp8 v[8:11], a[134:135], a[22:23], v[8:11]// 00000000397C: D3F30008 1C222D86
	v_fma_f32 v84, v12, v6, v84                                // 000000003984: D1CB0054 05520D0C
	v_fma_f32 v85, v13, v6, v85                                // 00000000398C: D1CB0055 05560D0D
	v_fma_f32 v86, v14, v6, v86                                // 000000003994: D1CB0056 055A0D0E
	v_fma_f32 v87, v15, v6, v87                                // 00000000399C: D1CB0057 055E0D0F
	v_mul_f32_dpp v6, v24, v55 row_newbcast:0 row_mask:0xf bank_mask:0xf// 0000000039A4: 0A0C6EFA FF015018
	v_mfma_f32_16x16x32_fp8_fp8 v[12:15], a[128:129], a[24:25], 0// 0000000039AC: D3F3000C 1A023180
	v_mfma_f32_16x16x32_fp8_fp8 v[12:15], a[130:131], a[26:27], v[12:15]// 0000000039B4: D3F3000C 1C323582
	buffer_load_dwordx4 a[156:159], v77, s[84:87], 0 offen offset:1024// 0000000039BC: E05C1400 80959C4D
	buffer_load_dword v60, s[20:23], 0 offen lds               // 0000000039C4: E0511000 8005003C
	s_add_u32 m0, 0x100, s48                                   // 0000000039CC: 807C30FF 00000100
	v_mfma_f32_16x16x32_fp8_fp8 v[12:15], a[132:133], a[28:29], v[12:15]// 0000000039D4: D3F3000C 1C323984
	v_mfma_f32_16x16x32_fp8_fp8 v[12:15], a[134:135], a[30:31], v[12:15]// 0000000039DC: D3F3000C 1C323D86
	buffer_load_dword v61, s[20:23], 0 offen lds               // 0000000039E4: E0511000 8005003D
	s_add_u32 m0, 0x200, s48                                   // 0000000039EC: 807C30FF 00000200
	v_fma_f32 v88, v8, v4, v88                                 // 0000000039F4: D1CB0058 05620908
	v_fma_f32 v89, v9, v4, v89                                 // 0000000039FC: D1CB0059 05660909
	v_fma_f32 v90, v10, v4, v90                                // 000000003A04: D1CB005A 056A090A
	v_fma_f32 v91, v11, v4, v91                                // 000000003A0C: D1CB005B 056E090B
	v_mul_f32_dpp v4, v24, v56 row_newbcast:0 row_mask:0xf bank_mask:0xf// 000000003A14: 0A0870FA FF015018
	v_mfma_f32_16x16x32_fp8_fp8 v[8:11], a[128:129], a[32:33], 0// 000000003A1C: D3F30008 1A024180
	v_mfma_f32_16x16x32_fp8_fp8 v[8:11], a[130:131], a[34:35], v[8:11]// 000000003A24: D3F30008 1C224582
	buffer_load_dword v62, s[20:23], 0 offen lds               // 000000003A2C: E0511000 8005003E
	s_add_u32 m0, 0x300, s48                                   // 000000003A34: 807C30FF 00000300
	v_mfma_f32_16x16x32_fp8_fp8 v[8:11], a[132:133], a[36:37], v[8:11]// 000000003A3C: D3F30008 1C224984
	v_mfma_f32_16x16x32_fp8_fp8 v[8:11], a[134:135], a[38:39], v[8:11]// 000000003A44: D3F30008 1C224D86
	buffer_load_dword v63, s[20:23], 0 offen lds               // 000000003A4C: E0511000 8005003F
	s_add_u32 m0, 0x400, s48                                   // 000000003A54: 807C30FF 00000400
	v_fma_f32 v92, v12, v6, v92                                // 000000003A5C: D1CB005C 05720D0C
	v_fma_f32 v93, v13, v6, v93                                // 000000003A64: D1CB005D 05760D0D
	v_fma_f32 v94, v14, v6, v94                                // 000000003A6C: D1CB005E 057A0D0E
	v_fma_f32 v95, v15, v6, v95                                // 000000003A74: D1CB005F 057E0D0F
	v_mul_f32_dpp v6, v24, v57 row_newbcast:0 row_mask:0xf bank_mask:0xf// 000000003A7C: 0A0C72FA FF015018
	v_mfma_f32_16x16x32_fp8_fp8 v[12:15], a[128:129], a[40:41], 0// 000000003A84: D3F3000C 1A025180
	v_mfma_f32_16x16x32_fp8_fp8 v[12:15], a[130:131], a[42:43], v[12:15]// 000000003A8C: D3F3000C 1C325582
	buffer_load_dword v64, s[20:23], 0 offen lds               // 000000003A94: E0511000 80050040
	s_add_u32 m0, 0x500, s48                                   // 000000003A9C: 807C30FF 00000500
	v_mfma_f32_16x16x32_fp8_fp8 v[12:15], a[132:133], a[44:45], v[12:15]// 000000003AA4: D3F3000C 1C325984
	v_mfma_f32_16x16x32_fp8_fp8 v[12:15], a[134:135], a[46:47], v[12:15]// 000000003AAC: D3F3000C 1C325D86
	buffer_load_dword v65, s[20:23], 0 offen lds               // 000000003AB4: E0511000 80050041
	s_add_u32 m0, 0x600, s48                                   // 000000003ABC: 807C30FF 00000600
	v_fma_f32 v96, v8, v4, v96                                 // 000000003AC4: D1CB0060 05820908
	v_fma_f32 v97, v9, v4, v97                                 // 000000003ACC: D1CB0061 05860909
	v_fma_f32 v98, v10, v4, v98                                // 000000003AD4: D1CB0062 058A090A
	v_fma_f32 v99, v11, v4, v99                                // 000000003ADC: D1CB0063 058E090B
	v_mul_f32_dpp v4, v24, v58 row_newbcast:0 row_mask:0xf bank_mask:0xf// 000000003AE4: 0A0874FA FF015018
	v_mfma_f32_16x16x32_fp8_fp8 v[8:11], a[128:129], a[48:49], 0// 000000003AEC: D3F30008 1A026180
	v_mfma_f32_16x16x32_fp8_fp8 v[8:11], a[130:131], a[50:51], v[8:11]// 000000003AF4: D3F30008 1C226582
	buffer_load_dword v66, s[20:23], 0 offen lds               // 000000003AFC: E0511000 80050042
	s_add_u32 m0, 0x700, s48                                   // 000000003B04: 807C30FF 00000700
	v_mfma_f32_16x16x32_fp8_fp8 v[8:11], a[132:133], a[52:53], v[8:11]// 000000003B0C: D3F30008 1C226984
	v_mfma_f32_16x16x32_fp8_fp8 v[8:11], a[134:135], a[54:55], v[8:11]// 000000003B14: D3F30008 1C226D86
	buffer_load_dword v67, s[20:23], 0 offen lds               // 000000003B1C: E0511000 80050043
	s_add_u32 m0, 0x800, s48                                   // 000000003B24: 807C30FF 00000800
	v_fma_f32 v100, v12, v6, v100                              // 000000003B2C: D1CB0064 05920D0C
	v_fma_f32 v101, v13, v6, v101                              // 000000003B34: D1CB0065 05960D0D
	v_fma_f32 v102, v14, v6, v102                              // 000000003B3C: D1CB0066 059A0D0E
	v_fma_f32 v103, v15, v6, v103                              // 000000003B44: D1CB0067 059E0D0F
	v_mul_f32_dpp v6, v24, v59 row_newbcast:0 row_mask:0xf bank_mask:0xf// 000000003B4C: 0A0C76FA FF015018
	v_mfma_f32_16x16x32_fp8_fp8 v[12:15], a[128:129], a[56:57], 0// 000000003B54: D3F3000C 1A027180
	v_mfma_f32_16x16x32_fp8_fp8 v[12:15], a[130:131], a[58:59], v[12:15]// 000000003B5C: D3F3000C 1C327582
	buffer_load_dword v68, s[20:23], 0 offen lds               // 000000003B64: E0511000 80050044
	s_add_u32 m0, 0x900, s48                                   // 000000003B6C: 807C30FF 00000900
	v_mfma_f32_16x16x32_fp8_fp8 v[12:15], a[132:133], a[60:61], v[12:15]// 000000003B74: D3F3000C 1C327984
	v_mfma_f32_16x16x32_fp8_fp8 v[12:15], a[134:135], a[62:63], v[12:15]// 000000003B7C: D3F3000C 1C327D86
	buffer_load_dword v69, s[20:23], 0 offen lds               // 000000003B84: E0511000 80050045
	s_add_u32 m0, 0xa00, s48                                   // 000000003B8C: 807C30FF 00000A00
	v_fma_f32 v104, v8, v4, v104                               // 000000003B94: D1CB0068 05A20908
	v_fma_f32 v105, v9, v4, v105                               // 000000003B9C: D1CB0069 05A60909
	v_fma_f32 v106, v10, v4, v106                              // 000000003BA4: D1CB006A 05AA090A
	v_fma_f32 v107, v11, v4, v107                              // 000000003BAC: D1CB006B 05AE090B
	s_waitcnt vmcnt(15)                                        // 000000003BB4: BF8C0F7F
	v_mul_f32_dpp v4, v24, v52 row_newbcast:0 row_mask:0xf bank_mask:0xf// 000000003BB8: 0A0868FA FF015018
	v_mfma_f32_16x16x32_fp8_fp8 v[8:11], a[136:137], a[0:1], 0 // 000000003BC0: D3F30008 1A020188
	v_mfma_f32_16x16x32_fp8_fp8 v[8:11], a[138:139], a[2:3], v[8:11]// 000000003BC8: D3F30008 1C22058A
	buffer_load_dword v70, s[20:23], 0 offen lds               // 000000003BD0: E0511000 80050046
	s_add_u32 m0, 0xb00, s48                                   // 000000003BD8: 807C30FF 00000B00
	v_mfma_f32_16x16x32_fp8_fp8 v[8:11], a[140:141], a[4:5], v[8:11]// 000000003BE0: D3F30008 1C22098C
	v_mfma_f32_16x16x32_fp8_fp8 v[8:11], a[142:143], a[6:7], v[8:11]// 000000003BE8: D3F30008 1C220D8E
	buffer_load_dword v71, s[20:23], 0 offen lds               // 000000003BF0: E0511000 80050047
	s_add_u32 m0, 0xc00, s48                                   // 000000003BF8: 807C30FF 00000C00
	v_fma_f32 v108, v12, v6, v108                              // 000000003C00: D1CB006C 05B20D0C
	v_fma_f32 v109, v13, v6, v109                              // 000000003C08: D1CB006D 05B60D0D
	v_fma_f32 v110, v14, v6, v110                              // 000000003C10: D1CB006E 05BA0D0E
	v_fma_f32 v111, v15, v6, v111                              // 000000003C18: D1CB006F 05BE0D0F
	v_mul_f32_dpp v6, v24, v53 row_newbcast:0 row_mask:0xf bank_mask:0xf// 000000003C20: 0A0C6AFA FF015018
	v_mfma_f32_16x16x32_fp8_fp8 v[12:15], a[136:137], a[8:9], 0// 000000003C28: D3F3000C 1A021188
	v_mfma_f32_16x16x32_fp8_fp8 v[12:15], a[138:139], a[10:11], v[12:15]// 000000003C30: D3F3000C 1C32158A
	buffer_load_dword v72, s[20:23], 0 offen lds               // 000000003C38: E0511000 80050048
	s_add_u32 m0, 0xd00, s48                                   // 000000003C40: 807C30FF 00000D00
	v_mfma_f32_16x16x32_fp8_fp8 v[12:15], a[140:141], a[12:13], v[12:15]// 000000003C48: D3F3000C 1C32198C
	v_mfma_f32_16x16x32_fp8_fp8 v[12:15], a[142:143], a[14:15], v[12:15]// 000000003C50: D3F3000C 1C321D8E
	buffer_load_dword v73, s[20:23], 0 offen lds               // 000000003C58: E0511000 80050049
	s_add_u32 m0, 0xe00, s48                                   // 000000003C60: 807C30FF 00000E00
	v_fma_f32 v112, v8, v4, v112                               // 000000003C68: D1CB0070 05C20908
	v_fma_f32 v113, v9, v4, v113                               // 000000003C70: D1CB0071 05C60909
	v_fma_f32 v114, v10, v4, v114                              // 000000003C78: D1CB0072 05CA090A
	v_fma_f32 v115, v11, v4, v115                              // 000000003C80: D1CB0073 05CE090B
	v_mul_f32_dpp v4, v24, v54 row_newbcast:0 row_mask:0xf bank_mask:0xf// 000000003C88: 0A086CFA FF015018
	v_mfma_f32_16x16x32_fp8_fp8 v[8:11], a[136:137], a[16:17], 0// 000000003C90: D3F30008 1A022188
	v_mfma_f32_16x16x32_fp8_fp8 v[8:11], a[138:139], a[18:19], v[8:11]// 000000003C98: D3F30008 1C22258A
	buffer_load_dword v74, s[20:23], 0 offen lds               // 000000003CA0: E0511000 8005004A
	s_add_u32 m0, 0xf00, s48                                   // 000000003CA8: 807C30FF 00000F00
	v_mfma_f32_16x16x32_fp8_fp8 v[8:11], a[140:141], a[20:21], v[8:11]// 000000003CB0: D3F30008 1C22298C
	v_mfma_f32_16x16x32_fp8_fp8 v[8:11], a[142:143], a[22:23], v[8:11]// 000000003CB8: D3F30008 1C222D8E
	buffer_load_dword v75, s[20:23], 0 offen lds               // 000000003CC0: E0511000 8005004B
	s_add_u32 m0, 0, s49                                       // 000000003CC8: 807C3180
	v_fma_f32 v116, v12, v6, v116                              // 000000003CCC: D1CB0074 05D20D0C
	v_fma_f32 v117, v13, v6, v117                              // 000000003CD4: D1CB0075 05D60D0D
	v_fma_f32 v118, v14, v6, v118                              // 000000003CDC: D1CB0076 05DA0D0E
	v_fma_f32 v119, v15, v6, v119                              // 000000003CE4: D1CB0077 05DE0D0F
	v_mul_f32_dpp v6, v24, v55 row_newbcast:0 row_mask:0xf bank_mask:0xf// 000000003CEC: 0A0C6EFA FF015018
	v_mfma_f32_16x16x32_fp8_fp8 v[12:15], a[136:137], a[24:25], 0// 000000003CF4: D3F3000C 1A023188
	v_mfma_f32_16x16x32_fp8_fp8 v[12:15], a[138:139], a[26:27], v[12:15]// 000000003CFC: D3F3000C 1C32358A
	buffer_load_dword v36, v28, s[28:31], 0 offen              // 000000003D04: E0501000 8007241C
	v_mfma_f32_16x16x32_fp8_fp8 v[12:15], a[140:141], a[28:29], v[12:15]// 000000003D0C: D3F3000C 1C32398C
	v_mfma_f32_16x16x32_fp8_fp8 v[12:15], a[142:143], a[30:31], v[12:15]// 000000003D14: D3F3000C 1C323D8E
	buffer_load_dword v37, v29, s[28:31], 0 offen              // 000000003D1C: E0501000 8007251D
	v_fma_f32 v120, v8, v4, v120                               // 000000003D24: D1CB0078 05E20908
	v_fma_f32 v121, v9, v4, v121                               // 000000003D2C: D1CB0079 05E60909
	v_fma_f32 v122, v10, v4, v122                              // 000000003D34: D1CB007A 05EA090A
	v_fma_f32 v123, v11, v4, v123                              // 000000003D3C: D1CB007B 05EE090B
	v_mul_f32_dpp v4, v24, v56 row_newbcast:0 row_mask:0xf bank_mask:0xf// 000000003D44: 0A0870FA FF015018
	v_mfma_f32_16x16x32_fp8_fp8 v[8:11], a[136:137], a[32:33], 0// 000000003D4C: D3F30008 1A024188
	v_mfma_f32_16x16x32_fp8_fp8 v[8:11], a[138:139], a[34:35], v[8:11]// 000000003D54: D3F30008 1C22458A
	buffer_load_dword v38, v30, s[28:31], 0 offen              // 000000003D5C: E0501000 8007261E
	v_mfma_f32_16x16x32_fp8_fp8 v[8:11], a[140:141], a[36:37], v[8:11]// 000000003D64: D3F30008 1C22498C
	v_mfma_f32_16x16x32_fp8_fp8 v[8:11], a[142:143], a[38:39], v[8:11]// 000000003D6C: D3F30008 1C224D8E
	buffer_load_dword v39, v31, s[28:31], 0 offen              // 000000003D74: E0501000 8007271F
	v_fma_f32 v124, v12, v6, v124                              // 000000003D7C: D1CB007C 05F20D0C
	v_fma_f32 v125, v13, v6, v125                              // 000000003D84: D1CB007D 05F60D0D
	v_fma_f32 v126, v14, v6, v126                              // 000000003D8C: D1CB007E 05FA0D0E
	v_fma_f32 v127, v15, v6, v127                              // 000000003D94: D1CB007F 05FE0D0F
	v_mul_f32_dpp v6, v24, v57 row_newbcast:0 row_mask:0xf bank_mask:0xf// 000000003D9C: 0A0C72FA FF015018
	v_mfma_f32_16x16x32_fp8_fp8 v[12:15], a[136:137], a[40:41], 0// 000000003DA4: D3F3000C 1A025188
	v_mfma_f32_16x16x32_fp8_fp8 v[12:15], a[138:139], a[42:43], v[12:15]// 000000003DAC: D3F3000C 1C32558A
	buffer_load_dword v40, v32, s[28:31], 0 offen              // 000000003DB4: E0501000 80072820
	v_mfma_f32_16x16x32_fp8_fp8 v[12:15], a[140:141], a[44:45], v[12:15]// 000000003DBC: D3F3000C 1C32598C
	v_mfma_f32_16x16x32_fp8_fp8 v[12:15], a[142:143], a[46:47], v[12:15]// 000000003DC4: D3F3000C 1C325D8E
	buffer_load_dword v41, v33, s[28:31], 0 offen              // 000000003DCC: E0501000 80072921
	v_fma_f32 v128, v8, v4, v128                               // 000000003DD4: D1CB0080 06020908
	v_fma_f32 v129, v9, v4, v129                               // 000000003DDC: D1CB0081 06060909
	v_fma_f32 v130, v10, v4, v130                              // 000000003DE4: D1CB0082 060A090A
	v_fma_f32 v131, v11, v4, v131                              // 000000003DEC: D1CB0083 060E090B
	v_mul_f32_dpp v4, v24, v58 row_newbcast:0 row_mask:0xf bank_mask:0xf// 000000003DF4: 0A0874FA FF015018
	v_mfma_f32_16x16x32_fp8_fp8 v[8:11], a[136:137], a[48:49], 0// 000000003DFC: D3F30008 1A026188
	v_mfma_f32_16x16x32_fp8_fp8 v[8:11], a[138:139], a[50:51], v[8:11]// 000000003E04: D3F30008 1C22658A
	buffer_load_dword v42, v34, s[28:31], 0 offen              // 000000003E0C: E0501000 80072A22
	v_mfma_f32_16x16x32_fp8_fp8 v[8:11], a[140:141], a[52:53], v[8:11]// 000000003E14: D3F30008 1C22698C
	v_mfma_f32_16x16x32_fp8_fp8 v[8:11], a[142:143], a[54:55], v[8:11]// 000000003E1C: D3F30008 1C226D8E
	buffer_load_dword v43, v35, s[28:31], 0 offen              // 000000003E24: E0501000 80072B23
	v_fma_f32 v132, v12, v6, v132                              // 000000003E2C: D1CB0084 06120D0C
	v_fma_f32 v133, v13, v6, v133                              // 000000003E34: D1CB0085 06160D0D
	v_fma_f32 v134, v14, v6, v134                              // 000000003E3C: D1CB0086 061A0D0E
	v_fma_f32 v135, v15, v6, v135                              // 000000003E44: D1CB0087 061E0D0F
	v_mul_f32_dpp v6, v24, v59 row_newbcast:0 row_mask:0xf bank_mask:0xf// 000000003E4C: 0A0C76FA FF015018
	v_mfma_f32_16x16x32_fp8_fp8 v[12:15], a[136:137], a[56:57], 0// 000000003E54: D3F3000C 1A027188
	v_mfma_f32_16x16x32_fp8_fp8 v[12:15], a[138:139], a[58:59], v[12:15]// 000000003E5C: D3F3000C 1C32758A
	s_add_u32 s60, 0x80, s80                                   // 000000003E64: 803C50FF 00000080
	s_cmp_lt_u32 s60, s81                                      // 000000003E6C: BF0A513C
	s_cselect_b32 s83, s83, 0                                  // 000000003E70: 85538053
	s_cselect_b32 s4, s4, 0                                    // 000000003E74: 85048004
	v_mfma_f32_16x16x32_fp8_fp8 v[12:15], a[140:141], a[60:61], v[12:15]// 000000003E78: D3F3000C 1C32798C
	s_add_u32 s32, s4, s32                                     // 000000003E80: 80202004
	s_addc_u32 s33, 0, s33                                     // 000000003E84: 82212180
	v_mfma_f32_16x16x32_fp8_fp8 v[12:15], a[142:143], a[62:63], v[12:15]// 000000003E88: D3F3000C 1C327D8E
	v_fma_f32 v136, v8, v4, v136                               // 000000003E90: D1CB0088 06220908
	v_fma_f32 v137, v9, v4, v137                               // 000000003E98: D1CB0089 06260909
	v_fma_f32 v138, v10, v4, v138                              // 000000003EA0: D1CB008A 062A090A
	v_fma_f32 v139, v11, v4, v139                              // 000000003EA8: D1CB008B 062E090B
	v_fma_f32 v140, v12, v6, v140                              // 000000003EB0: D1CB008C 06320D0C
	v_fma_f32 v141, v13, v6, v141                              // 000000003EB8: D1CB008D 06360D0D
	v_fma_f32 v142, v14, v6, v142                              // 000000003EC0: D1CB008E 063A0D0E
	v_fma_f32 v143, v15, v6, v143                              // 000000003EC8: D1CB008F 063E0D0F
	s_waitcnt vmcnt(24)                                        // 000000003ED0: BF8C4F78
	v_mul_f32_dpp v4, v27, v52 row_newbcast:0 row_mask:0xf bank_mask:0xf// 000000003ED4: 0A0868FA FF01501B
	v_mfma_f32_16x16x32_fp8_fp8 v[8:11], a[144:145], a[0:1], 0 // 000000003EDC: D3F30008 1A020190
	buffer_load_dword v24, v22, s[32:35], 0 offen              // 000000003EE4: E0501000 80081816
	v_mfma_f32_16x16x32_fp8_fp8 v[8:11], a[146:147], a[2:3], v[8:11]// 000000003EEC: D3F30008 1C220592
	buffer_load_dwordx4 a[128:131], v76, s[24:27], 0 offen     // 000000003EF4: E05C1000 8086804C
	v_mfma_f32_16x16x32_fp8_fp8 v[8:11], a[148:149], a[4:5], v[8:11]// 000000003EFC: D3F30008 1C220994
	v_mfma_f32_16x16x32_fp8_fp8 v[8:11], a[150:151], a[6:7], v[8:11]// 000000003F04: D3F30008 1C220D96
	ds_read_b128 a[64:67], v2 offset:16512                     // 000000003F0C: DBFE4080 40000002
	ds_read_b128 a[68:71], v2 offset:16576                     // 000000003F14: DBFE40C0 44000002
	v_mfma_f32_16x16x32_fp8_fp8 v[12:15], a[152:153], a[0:1], 0// 000000003F1C: D3F3000C 1A020198
	v_mfma_f32_16x16x32_fp8_fp8 v[12:15], a[154:155], a[2:3], v[12:15]// 000000003F24: D3F3000C 1C32059A
	buffer_load_dwordx4 a[132:135], v76, s[24:27], 0 offen offset:1024// 000000003F2C: E05C1400 8086844C
	v_mfma_f32_16x16x32_fp8_fp8 v[12:15], a[156:157], a[4:5], v[12:15]// 000000003F34: D3F3000C 1C32099C
	v_mfma_f32_16x16x32_fp8_fp8 v[12:15], a[158:159], a[6:7], v[12:15]// 000000003F3C: D3F3000C 1C320D9E
	ds_read_b128 a[72:75], v2 offset:17024                     // 000000003F44: DBFE4280 48000002
	ds_read_b128 a[76:79], v2 offset:17088                     // 000000003F4C: DBFE42C0 4C000002
	v_fma_f32 v144, v8, v4, v144                               // 000000003F54: D1CB0090 06420908
	v_fma_f32 v145, v9, v4, v145                               // 000000003F5C: D1CB0091 06460909
	v_fma_f32 v146, v10, v4, v146                              // 000000003F64: D1CB0092 064A090A
	v_fma_f32 v147, v11, v4, v147                              // 000000003F6C: D1CB0093 064E090B
	v_mul_f32_dpp v6, v27, v53 row_newbcast:0 row_mask:0xf bank_mask:0xf// 000000003F74: 0A0C6AFA FF01501B
	v_mfma_f32_16x16x32_fp8_fp8 v[8:11], a[144:145], a[8:9], 0 // 000000003F7C: D3F30008 1A021190
	v_mfma_f32_16x16x32_fp8_fp8 v[8:11], a[146:147], a[10:11], v[8:11]// 000000003F84: D3F30008 1C221592
	buffer_load_dwordx4 a[136:139], v77, s[24:27], 0 offen     // 000000003F8C: E05C1000 8086884D
	v_mfma_f32_16x16x32_fp8_fp8 v[8:11], a[148:149], a[12:13], v[8:11]// 000000003F94: D3F30008 1C221994
	v_mfma_f32_16x16x32_fp8_fp8 v[8:11], a[150:151], a[14:15], v[8:11]// 000000003F9C: D3F30008 1C221D96
	ds_read_b128 a[80:83], v2 offset:17536                     // 000000003FA4: DBFE4480 50000002
	ds_read_b128 a[84:87], v2 offset:17600                     // 000000003FAC: DBFE44C0 54000002
	v_fma_f32 v176, v12, v4, v176                              // 000000003FB4: D1CB00B0 06C2090C
	v_fma_f32 v177, v13, v4, v177                              // 000000003FBC: D1CB00B1 06C6090D
	v_fma_f32 v178, v14, v4, v178                              // 000000003FC4: D1CB00B2 06CA090E
	v_fma_f32 v179, v15, v4, v179                              // 000000003FCC: D1CB00B3 06CE090F
	v_mfma_f32_16x16x32_fp8_fp8 v[12:15], a[152:153], a[8:9], 0// 000000003FD4: D3F3000C 1A021198
	v_mfma_f32_16x16x32_fp8_fp8 v[12:15], a[154:155], a[10:11], v[12:15]// 000000003FDC: D3F3000C 1C32159A
	buffer_load_dwordx4 a[140:143], v77, s[24:27], 0 offen offset:1024// 000000003FE4: E05C1400 80868C4D
	v_mfma_f32_16x16x32_fp8_fp8 v[12:15], a[156:157], a[12:13], v[12:15]// 000000003FEC: D3F3000C 1C32199C
	v_mfma_f32_16x16x32_fp8_fp8 v[12:15], a[158:159], a[14:15], v[12:15]// 000000003FF4: D3F3000C 1C321D9E
	ds_read_b128 a[88:91], v2 offset:18048                     // 000000003FFC: DBFE4680 58000002
	ds_read_b128 a[92:95], v2 offset:18112                     // 000000004004: DBFE46C0 5C000002
	v_fma_f32 v148, v8, v6, v148                               // 00000000400C: D1CB0094 06520D08
	v_fma_f32 v149, v9, v6, v149                               // 000000004014: D1CB0095 06560D09
	v_fma_f32 v150, v10, v6, v150                              // 00000000401C: D1CB0096 065A0D0A
	v_fma_f32 v151, v11, v6, v151                              // 000000004024: D1CB0097 065E0D0B
	v_mul_f32_dpp v4, v27, v54 row_newbcast:0 row_mask:0xf bank_mask:0xf// 00000000402C: 0A086CFA FF01501B
	v_mfma_f32_16x16x32_fp8_fp8 v[8:11], a[144:145], a[16:17], 0// 000000004034: D3F30008 1A022190
	v_mfma_f32_16x16x32_fp8_fp8 v[8:11], a[146:147], a[18:19], v[8:11]// 00000000403C: D3F30008 1C222592
	v_mfma_f32_16x16x32_fp8_fp8 v[8:11], a[148:149], a[20:21], v[8:11]// 000000004044: D3F30008 1C222994
	v_mfma_f32_16x16x32_fp8_fp8 v[8:11], a[150:151], a[22:23], v[8:11]// 00000000404C: D3F30008 1C222D96
	ds_read_b128 a[96:99], v2 offset:18560                     // 000000004054: DBFE4880 60000002
	ds_read_b128 a[100:103], v2 offset:18624                   // 00000000405C: DBFE48C0 64000002
	v_fma_f32 v180, v12, v6, v180                              // 000000004064: D1CB00B4 06D20D0C
	v_fma_f32 v181, v13, v6, v181                              // 00000000406C: D1CB00B5 06D60D0D
	v_fma_f32 v182, v14, v6, v182                              // 000000004074: D1CB00B6 06DA0D0E
	v_fma_f32 v183, v15, v6, v183                              // 00000000407C: D1CB00B7 06DE0D0F
	v_mfma_f32_16x16x32_fp8_fp8 v[12:15], a[152:153], a[16:17], 0// 000000004084: D3F3000C 1A022198
	v_mfma_f32_16x16x32_fp8_fp8 v[12:15], a[154:155], a[18:19], v[12:15]// 00000000408C: D3F3000C 1C32259A
	v_mfma_f32_16x16x32_fp8_fp8 v[12:15], a[156:157], a[20:21], v[12:15]// 000000004094: D3F3000C 1C32299C
	v_mfma_f32_16x16x32_fp8_fp8 v[12:15], a[158:159], a[22:23], v[12:15]// 00000000409C: D3F3000C 1C322D9E
	ds_read_b128 a[104:107], v2 offset:19072                   // 0000000040A4: DBFE4A80 68000002
	ds_read_b128 a[108:111], v2 offset:19136                   // 0000000040AC: DBFE4AC0 6C000002
	v_fma_f32 v152, v8, v4, v152                               // 0000000040B4: D1CB0098 06620908
	v_fma_f32 v153, v9, v4, v153                               // 0000000040BC: D1CB0099 06660909
	v_fma_f32 v154, v10, v4, v154                              // 0000000040C4: D1CB009A 066A090A
	v_fma_f32 v155, v11, v4, v155                              // 0000000040CC: D1CB009B 066E090B
	v_mul_f32_dpp v6, v27, v55 row_newbcast:0 row_mask:0xf bank_mask:0xf// 0000000040D4: 0A0C6EFA FF01501B
	v_mfma_f32_16x16x32_fp8_fp8 v[8:11], a[144:145], a[24:25], 0// 0000000040DC: D3F30008 1A023190
	v_mfma_f32_16x16x32_fp8_fp8 v[8:11], a[146:147], a[26:27], v[8:11]// 0000000040E4: D3F30008 1C223592
	v_mfma_f32_16x16x32_fp8_fp8 v[8:11], a[148:149], a[28:29], v[8:11]// 0000000040EC: D3F30008 1C223994
	v_mfma_f32_16x16x32_fp8_fp8 v[8:11], a[150:151], a[30:31], v[8:11]// 0000000040F4: D3F30008 1C223D96
	ds_read_b128 a[112:115], v2 offset:19584                   // 0000000040FC: DBFE4C80 70000002
	ds_read_b128 a[116:119], v2 offset:19648                   // 000000004104: DBFE4CC0 74000002
	v_fma_f32 v184, v12, v4, v184                              // 00000000410C: D1CB00B8 06E2090C
	v_fma_f32 v185, v13, v4, v185                              // 000000004114: D1CB00B9 06E6090D
	v_fma_f32 v186, v14, v4, v186                              // 00000000411C: D1CB00BA 06EA090E
	v_fma_f32 v187, v15, v4, v187                              // 000000004124: D1CB00BB 06EE090F
	v_mfma_f32_16x16x32_fp8_fp8 v[12:15], a[152:153], a[24:25], 0// 00000000412C: D3F3000C 1A023198
	v_mfma_f32_16x16x32_fp8_fp8 v[12:15], a[154:155], a[26:27], v[12:15]// 000000004134: D3F3000C 1C32359A
	v_mfma_f32_16x16x32_fp8_fp8 v[12:15], a[156:157], a[28:29], v[12:15]// 00000000413C: D3F3000C 1C32399C
	v_mfma_f32_16x16x32_fp8_fp8 v[12:15], a[158:159], a[30:31], v[12:15]// 000000004144: D3F3000C 1C323D9E
	ds_read_b128 a[120:123], v2 offset:20096                   // 00000000414C: DBFE4E80 78000002
	ds_read_b128 a[124:127], v2 offset:20160                   // 000000004154: DBFE4EC0 7C000002
	v_fma_f32 v156, v8, v6, v156                               // 00000000415C: D1CB009C 06720D08
	v_fma_f32 v157, v9, v6, v157                               // 000000004164: D1CB009D 06760D09
	v_fma_f32 v158, v10, v6, v158                              // 00000000416C: D1CB009E 067A0D0A
	v_fma_f32 v159, v11, v6, v159                              // 000000004174: D1CB009F 067E0D0B
	v_mul_f32_dpp v4, v27, v56 row_newbcast:0 row_mask:0xf bank_mask:0xf// 00000000417C: 0A0870FA FF01501B
	v_mfma_f32_16x16x32_fp8_fp8 v[8:11], a[144:145], a[32:33], 0// 000000004184: D3F30008 1A024190
	v_mfma_f32_16x16x32_fp8_fp8 v[8:11], a[146:147], a[34:35], v[8:11]// 00000000418C: D3F30008 1C224592
	v_mfma_f32_16x16x32_fp8_fp8 v[8:11], a[148:149], a[36:37], v[8:11]// 000000004194: D3F30008 1C224994
	v_mfma_f32_16x16x32_fp8_fp8 v[8:11], a[150:151], a[38:39], v[8:11]// 00000000419C: D3F30008 1C224D96
	v_fma_f32 v188, v12, v6, v188                              // 0000000041A4: D1CB00BC 06F20D0C
	v_fma_f32 v189, v13, v6, v189                              // 0000000041AC: D1CB00BD 06F60D0D
	v_fma_f32 v190, v14, v6, v190                              // 0000000041B4: D1CB00BE 06FA0D0E
	v_fma_f32 v191, v15, v6, v191                              // 0000000041BC: D1CB00BF 06FE0D0F
	v_mfma_f32_16x16x32_fp8_fp8 v[12:15], a[152:153], a[32:33], 0// 0000000041C4: D3F3000C 1A024198
	v_mfma_f32_16x16x32_fp8_fp8 v[12:15], a[154:155], a[34:35], v[12:15]// 0000000041CC: D3F3000C 1C32459A
	v_mfma_f32_16x16x32_fp8_fp8 v[12:15], a[156:157], a[36:37], v[12:15]// 0000000041D4: D3F3000C 1C32499C
	v_mfma_f32_16x16x32_fp8_fp8 v[12:15], a[158:159], a[38:39], v[12:15]// 0000000041DC: D3F3000C 1C324D9E
	v_fma_f32 v160, v8, v4, v160                               // 0000000041E4: D1CB00A0 06820908
	v_fma_f32 v161, v9, v4, v161                               // 0000000041EC: D1CB00A1 06860909
	v_fma_f32 v162, v10, v4, v162                              // 0000000041F4: D1CB00A2 068A090A
	v_fma_f32 v163, v11, v4, v163                              // 0000000041FC: D1CB00A3 068E090B
	v_mul_f32_dpp v6, v27, v57 row_newbcast:0 row_mask:0xf bank_mask:0xf// 000000004204: 0A0C72FA FF01501B
	v_mfma_f32_16x16x32_fp8_fp8 v[8:11], a[144:145], a[40:41], 0// 00000000420C: D3F30008 1A025190
	v_mfma_f32_16x16x32_fp8_fp8 v[8:11], a[146:147], a[42:43], v[8:11]// 000000004214: D3F30008 1C225592
	v_mfma_f32_16x16x32_fp8_fp8 v[8:11], a[148:149], a[44:45], v[8:11]// 00000000421C: D3F30008 1C225994
	v_mfma_f32_16x16x32_fp8_fp8 v[8:11], a[150:151], a[46:47], v[8:11]// 000000004224: D3F30008 1C225D96
	v_fma_f32 v192, v12, v4, v192                              // 00000000422C: D1CB00C0 0702090C
	v_fma_f32 v193, v13, v4, v193                              // 000000004234: D1CB00C1 0706090D
	v_fma_f32 v194, v14, v4, v194                              // 00000000423C: D1CB00C2 070A090E
	v_fma_f32 v195, v15, v4, v195                              // 000000004244: D1CB00C3 070E090F
	v_mfma_f32_16x16x32_fp8_fp8 v[12:15], a[152:153], a[40:41], 0// 00000000424C: D3F3000C 1A025198
	v_mfma_f32_16x16x32_fp8_fp8 v[12:15], a[154:155], a[42:43], v[12:15]// 000000004254: D3F3000C 1C32559A
	v_mfma_f32_16x16x32_fp8_fp8 v[12:15], a[156:157], a[44:45], v[12:15]// 00000000425C: D3F3000C 1C32599C
	v_mfma_f32_16x16x32_fp8_fp8 v[12:15], a[158:159], a[46:47], v[12:15]// 000000004264: D3F3000C 1C325D9E
	v_fma_f32 v164, v8, v6, v164                               // 00000000426C: D1CB00A4 06920D08
	v_fma_f32 v165, v9, v6, v165                               // 000000004274: D1CB00A5 06960D09
	v_fma_f32 v166, v10, v6, v166                              // 00000000427C: D1CB00A6 069A0D0A
	v_fma_f32 v167, v11, v6, v167                              // 000000004284: D1CB00A7 069E0D0B
	v_mul_f32_dpp v4, v27, v58 row_newbcast:0 row_mask:0xf bank_mask:0xf// 00000000428C: 0A0874FA FF01501B
	v_mfma_f32_16x16x32_fp8_fp8 v[8:11], a[144:145], a[48:49], 0// 000000004294: D3F30008 1A026190
	v_mfma_f32_16x16x32_fp8_fp8 v[8:11], a[146:147], a[50:51], v[8:11]// 00000000429C: D3F30008 1C226592
	v_mfma_f32_16x16x32_fp8_fp8 v[8:11], a[148:149], a[52:53], v[8:11]// 0000000042A4: D3F30008 1C226994
	v_mfma_f32_16x16x32_fp8_fp8 v[8:11], a[150:151], a[54:55], v[8:11]// 0000000042AC: D3F30008 1C226D96
	v_fma_f32 v196, v12, v6, v196                              // 0000000042B4: D1CB00C4 07120D0C
	v_fma_f32 v197, v13, v6, v197                              // 0000000042BC: D1CB00C5 07160D0D
	v_fma_f32 v198, v14, v6, v198                              // 0000000042C4: D1CB00C6 071A0D0E
	v_fma_f32 v199, v15, v6, v199                              // 0000000042CC: D1CB00C7 071E0D0F
	v_mfma_f32_16x16x32_fp8_fp8 v[12:15], a[152:153], a[48:49], 0// 0000000042D4: D3F3000C 1A026198
	v_mfma_f32_16x16x32_fp8_fp8 v[12:15], a[154:155], a[50:51], v[12:15]// 0000000042DC: D3F3000C 1C32659A
	v_mfma_f32_16x16x32_fp8_fp8 v[12:15], a[156:157], a[52:53], v[12:15]// 0000000042E4: D3F3000C 1C32699C
	v_mfma_f32_16x16x32_fp8_fp8 v[12:15], a[158:159], a[54:55], v[12:15]// 0000000042EC: D3F3000C 1C326D9E
	v_fma_f32 v168, v8, v4, v168                               // 0000000042F4: D1CB00A8 06A20908
	v_fma_f32 v169, v9, v4, v169                               // 0000000042FC: D1CB00A9 06A60909
	v_fma_f32 v170, v10, v4, v170                              // 000000004304: D1CB00AA 06AA090A
	v_fma_f32 v171, v11, v4, v171                              // 00000000430C: D1CB00AB 06AE090B
	v_mul_f32_dpp v6, v27, v59 row_newbcast:0 row_mask:0xf bank_mask:0xf// 000000004314: 0A0C76FA FF01501B
	v_mfma_f32_16x16x32_fp8_fp8 v[8:11], a[144:145], a[56:57], 0// 00000000431C: D3F30008 1A027190
	v_mfma_f32_16x16x32_fp8_fp8 v[8:11], a[146:147], a[58:59], v[8:11]// 000000004324: D3F30008 1C227592
	v_mfma_f32_16x16x32_fp8_fp8 v[8:11], a[148:149], a[60:61], v[8:11]// 00000000432C: D3F30008 1C227994
	s_add_u32 s60, 0x180, s80                                  // 000000004334: 803C50FF 00000180
	s_cmp_lt_u32 s60, s81                                      // 00000000433C: BF0A513C
	s_cselect_b32 s57, s57, 0                                  // 000000004340: 85398039
	s_cselect_b32 s3, s3, 0                                    // 000000004344: 85038003
	v_mfma_f32_16x16x32_fp8_fp8 v[8:11], a[150:151], a[62:63], v[8:11]// 000000004348: D3F30008 1C227D96
	s_add_u32 s60, 0x100, s80                                  // 000000004350: 803C50FF 00000100
	s_cmp_lt_u32 s60, s81                                      // 000000004358: BF0A513C
	s_cselect_b32 s58, s58, 0                                  // 00000000435C: 853A803A
	v_fma_f32 v200, v12, v4, v200                              // 000000004360: D1CB00C8 0722090C
	v_fma_f32 v201, v13, v4, v201                              // 000000004368: D1CB00C9 0726090D
	v_fma_f32 v202, v14, v4, v202                              // 000000004370: D1CB00CA 072A090E
	v_fma_f32 v203, v15, v4, v203                              // 000000004378: D1CB00CB 072E090F
	v_mfma_f32_16x16x32_fp8_fp8 v[12:15], a[152:153], a[56:57], 0// 000000004380: D3F3000C 1A027198
	s_add_u32 s24, s58, s24                                    // 000000004388: 8018183A
	s_addc_u32 s25, 0, s25                                     // 00000000438C: 82191980
	v_mfma_f32_16x16x32_fp8_fp8 v[12:15], a[154:155], a[58:59], v[12:15]// 000000004390: D3F3000C 1C32759A
	s_add_u32 s20, s57, s20                                    // 000000004398: 80141439
	s_addc_u32 s21, 0, s21                                     // 00000000439C: 82151580
	s_add_u32 s28, s3, s28                                     // 0000000043A0: 801C1C03
	s_addc_u32 s29, 0, s29                                     // 0000000043A4: 821D1D80
	v_mfma_f32_16x16x32_fp8_fp8 v[12:15], a[156:157], a[60:61], v[12:15]// 0000000043A8: D3F3000C 1C32799C
	s_add_u32 s84, s83, s84                                    // 0000000043B0: 80545453
	s_addc_u32 s85, 0, s85                                     // 0000000043B4: 82555580
	v_mfma_f32_16x16x32_fp8_fp8 v[12:15], a[158:159], a[62:63], v[12:15]// 0000000043B8: D3F3000C 1C327D9E
	v_fma_f32 v172, v8, v6, v172                               // 0000000043C0: D1CB00AC 06B20D08
	v_fma_f32 v173, v9, v6, v173                               // 0000000043C8: D1CB00AD 06B60D09
	v_fma_f32 v174, v10, v6, v174                              // 0000000043D0: D1CB00AE 06BA0D0A
	v_fma_f32 v175, v11, v6, v175                              // 0000000043D8: D1CB00AF 06BE0D0B
	v_fma_f32 v204, v12, v6, v204                              // 0000000043E0: D1CB00CC 07320D0C
	v_fma_f32 v205, v13, v6, v205                              // 0000000043E8: D1CB00CD 07360D0D
	v_fma_f32 v206, v14, v6, v206                              // 0000000043F0: D1CB00CE 073A0D0E
	v_fma_f32 v207, v15, v6, v207                              // 0000000043F8: D1CB00CF 073E0D0F
	s_addk_i32 s80, 0x80                                       // 000000004400: B7500080
	s_cmp_lt_i32 s80, s81                                      // 000000004404: BF045150
	s_cbranch_scc0 label_095E                                  // 000000004408: BF8402DB
	s_waitcnt vmcnt(2) lgkmcnt(0)                              // 00000000440C: BF8C0072
	s_barrier                                                  // 000000004410: BF8A0000
	v_mov_b32_e32 v52, v44                                     // 000000004414: 7E68032C
	v_mov_b32_e32 v53, v45                                     // 000000004418: 7E6A032D
	v_mov_b32_e32 v54, v46                                     // 00000000441C: 7E6C032E
	v_mov_b32_e32 v55, v47                                     // 000000004420: 7E6E032F
	v_mov_b32_e32 v56, v48                                     // 000000004424: 7E700330
	v_mov_b32_e32 v57, v49                                     // 000000004428: 7E720331
	v_mov_b32_e32 v58, v50                                     // 00000000442C: 7E740332
	v_mov_b32_e32 v59, v51                                     // 000000004430: 7E760333
	v_mul_f32_dpp v4, v24, v52 row_newbcast:0 row_mask:0xf bank_mask:0xf// 000000004434: 0A0868FA FF015018
	v_mfma_f32_16x16x32_fp8_fp8 v[8:11], a[128:129], a[64:65], 0// 00000000443C: D3F30008 1A028180
	buffer_load_dword v27, v23, s[32:35], 0 offen              // 000000004444: E0501000 80081B17
	v_mfma_f32_16x16x32_fp8_fp8 v[8:11], a[130:131], a[66:67], v[8:11]// 00000000444C: D3F30008 1C228582
	buffer_load_dwordx4 a[144:147], v76, s[84:87], 0 offen     // 000000004454: E05C1000 8095904C
	v_mfma_f32_16x16x32_fp8_fp8 v[8:11], a[132:133], a[68:69], v[8:11]// 00000000445C: D3F30008 1C228984
	v_mfma_f32_16x16x32_fp8_fp8 v[8:11], a[134:135], a[70:71], v[8:11]// 000000004464: D3F30008 1C228D86
	v_mul_f32_dpp v6, v24, v53 row_newbcast:0 row_mask:0xf bank_mask:0xf// 00000000446C: 0A0C6AFA FF015018
	v_mfma_f32_16x16x32_fp8_fp8 v[12:15], a[128:129], a[72:73], 0// 000000004474: D3F3000C 1A029180
	v_mfma_f32_16x16x32_fp8_fp8 v[12:15], a[130:131], a[74:75], v[12:15]// 00000000447C: D3F3000C 1C329582
	buffer_load_dwordx4 a[148:151], v76, s[84:87], 0 offen offset:1024// 000000004484: E05C1400 8095944C
	v_mfma_f32_16x16x32_fp8_fp8 v[12:15], a[132:133], a[76:77], v[12:15]// 00000000448C: D3F3000C 1C329984
	v_mfma_f32_16x16x32_fp8_fp8 v[12:15], a[134:135], a[78:79], v[12:15]// 000000004494: D3F3000C 1C329D86
	v_fma_f32 v80, v8, v4, v80                                 // 00000000449C: D1CB0050 05420908
	v_fma_f32 v81, v9, v4, v81                                 // 0000000044A4: D1CB0051 05460909
	v_fma_f32 v82, v10, v4, v82                                // 0000000044AC: D1CB0052 054A090A
	v_fma_f32 v83, v11, v4, v83                                // 0000000044B4: D1CB0053 054E090B
	v_mul_f32_dpp v4, v24, v54 row_newbcast:0 row_mask:0xf bank_mask:0xf// 0000000044BC: 0A086CFA FF015018
	v_mfma_f32_16x16x32_fp8_fp8 v[8:11], a[128:129], a[80:81], 0// 0000000044C4: D3F30008 1A02A180
	v_mfma_f32_16x16x32_fp8_fp8 v[8:11], a[130:131], a[82:83], v[8:11]// 0000000044CC: D3F30008 1C22A582
	buffer_load_dwordx4 a[152:155], v77, s[84:87], 0 offen     // 0000000044D4: E05C1000 8095984D
	v_mfma_f32_16x16x32_fp8_fp8 v[8:11], a[132:133], a[84:85], v[8:11]// 0000000044DC: D3F30008 1C22A984
	v_mfma_f32_16x16x32_fp8_fp8 v[8:11], a[134:135], a[86:87], v[8:11]// 0000000044E4: D3F30008 1C22AD86
	v_fma_f32 v84, v12, v6, v84                                // 0000000044EC: D1CB0054 05520D0C
	v_fma_f32 v85, v13, v6, v85                                // 0000000044F4: D1CB0055 05560D0D
	v_fma_f32 v86, v14, v6, v86                                // 0000000044FC: D1CB0056 055A0D0E
	v_fma_f32 v87, v15, v6, v87                                // 000000004504: D1CB0057 055E0D0F
	v_mul_f32_dpp v6, v24, v55 row_newbcast:0 row_mask:0xf bank_mask:0xf// 00000000450C: 0A0C6EFA FF015018
	v_mfma_f32_16x16x32_fp8_fp8 v[12:15], a[128:129], a[88:89], 0// 000000004514: D3F3000C 1A02B180
	v_mfma_f32_16x16x32_fp8_fp8 v[12:15], a[130:131], a[90:91], v[12:15]// 00000000451C: D3F3000C 1C32B582
	buffer_load_dwordx4 a[156:159], v77, s[84:87], 0 offen offset:1024// 000000004524: E05C1400 80959C4D
	buffer_load_dword v60, s[20:23], 0 offen lds               // 00000000452C: E0511000 8005003C
	s_add_u32 m0, 0x100, s49                                   // 000000004534: 807C31FF 00000100
	v_mfma_f32_16x16x32_fp8_fp8 v[12:15], a[132:133], a[92:93], v[12:15]// 00000000453C: D3F3000C 1C32B984
	v_mfma_f32_16x16x32_fp8_fp8 v[12:15], a[134:135], a[94:95], v[12:15]// 000000004544: D3F3000C 1C32BD86
	buffer_load_dword v61, s[20:23], 0 offen lds               // 00000000454C: E0511000 8005003D
	s_add_u32 m0, 0x200, s49                                   // 000000004554: 807C31FF 00000200
	v_fma_f32 v88, v8, v4, v88                                 // 00000000455C: D1CB0058 05620908
	v_fma_f32 v89, v9, v4, v89                                 // 000000004564: D1CB0059 05660909
	v_fma_f32 v90, v10, v4, v90                                // 00000000456C: D1CB005A 056A090A
	v_fma_f32 v91, v11, v4, v91                                // 000000004574: D1CB005B 056E090B
	v_mul_f32_dpp v4, v24, v56 row_newbcast:0 row_mask:0xf bank_mask:0xf// 00000000457C: 0A0870FA FF015018
	v_mfma_f32_16x16x32_fp8_fp8 v[8:11], a[128:129], a[96:97], 0// 000000004584: D3F30008 1A02C180
	v_mfma_f32_16x16x32_fp8_fp8 v[8:11], a[130:131], a[98:99], v[8:11]// 00000000458C: D3F30008 1C22C582
	buffer_load_dword v62, s[20:23], 0 offen lds               // 000000004594: E0511000 8005003E
	s_add_u32 m0, 0x300, s49                                   // 00000000459C: 807C31FF 00000300
	v_mfma_f32_16x16x32_fp8_fp8 v[8:11], a[132:133], a[100:101], v[8:11]// 0000000045A4: D3F30008 1C22C984
	v_mfma_f32_16x16x32_fp8_fp8 v[8:11], a[134:135], a[102:103], v[8:11]// 0000000045AC: D3F30008 1C22CD86
	buffer_load_dword v63, s[20:23], 0 offen lds               // 0000000045B4: E0511000 8005003F
	s_add_u32 m0, 0x400, s49                                   // 0000000045BC: 807C31FF 00000400
	v_fma_f32 v92, v12, v6, v92                                // 0000000045C4: D1CB005C 05720D0C
	v_fma_f32 v93, v13, v6, v93                                // 0000000045CC: D1CB005D 05760D0D
	v_fma_f32 v94, v14, v6, v94                                // 0000000045D4: D1CB005E 057A0D0E
	v_fma_f32 v95, v15, v6, v95                                // 0000000045DC: D1CB005F 057E0D0F
	v_mul_f32_dpp v6, v24, v57 row_newbcast:0 row_mask:0xf bank_mask:0xf// 0000000045E4: 0A0C72FA FF015018
	v_mfma_f32_16x16x32_fp8_fp8 v[12:15], a[128:129], a[104:105], 0// 0000000045EC: D3F3000C 1A02D180
	v_mfma_f32_16x16x32_fp8_fp8 v[12:15], a[130:131], a[106:107], v[12:15]// 0000000045F4: D3F3000C 1C32D582
	buffer_load_dword v64, s[20:23], 0 offen lds               // 0000000045FC: E0511000 80050040
	s_add_u32 m0, 0x500, s49                                   // 000000004604: 807C31FF 00000500
	v_mfma_f32_16x16x32_fp8_fp8 v[12:15], a[132:133], a[108:109], v[12:15]// 00000000460C: D3F3000C 1C32D984
	v_mfma_f32_16x16x32_fp8_fp8 v[12:15], a[134:135], a[110:111], v[12:15]// 000000004614: D3F3000C 1C32DD86
	buffer_load_dword v65, s[20:23], 0 offen lds               // 00000000461C: E0511000 80050041
	s_add_u32 m0, 0x600, s49                                   // 000000004624: 807C31FF 00000600
	v_fma_f32 v96, v8, v4, v96                                 // 00000000462C: D1CB0060 05820908
	v_fma_f32 v97, v9, v4, v97                                 // 000000004634: D1CB0061 05860909
	v_fma_f32 v98, v10, v4, v98                                // 00000000463C: D1CB0062 058A090A
	v_fma_f32 v99, v11, v4, v99                                // 000000004644: D1CB0063 058E090B
	v_mul_f32_dpp v4, v24, v58 row_newbcast:0 row_mask:0xf bank_mask:0xf// 00000000464C: 0A0874FA FF015018
	v_mfma_f32_16x16x32_fp8_fp8 v[8:11], a[128:129], a[112:113], 0// 000000004654: D3F30008 1A02E180
	v_mfma_f32_16x16x32_fp8_fp8 v[8:11], a[130:131], a[114:115], v[8:11]// 00000000465C: D3F30008 1C22E582
	buffer_load_dword v66, s[20:23], 0 offen lds               // 000000004664: E0511000 80050042
	s_add_u32 m0, 0x700, s49                                   // 00000000466C: 807C31FF 00000700
	v_mfma_f32_16x16x32_fp8_fp8 v[8:11], a[132:133], a[116:117], v[8:11]// 000000004674: D3F30008 1C22E984
	v_mfma_f32_16x16x32_fp8_fp8 v[8:11], a[134:135], a[118:119], v[8:11]// 00000000467C: D3F30008 1C22ED86
	buffer_load_dword v67, s[20:23], 0 offen lds               // 000000004684: E0511000 80050043
	s_add_u32 m0, 0x800, s49                                   // 00000000468C: 807C31FF 00000800
	v_fma_f32 v100, v12, v6, v100                              // 000000004694: D1CB0064 05920D0C
	v_fma_f32 v101, v13, v6, v101                              // 00000000469C: D1CB0065 05960D0D
	v_fma_f32 v102, v14, v6, v102                              // 0000000046A4: D1CB0066 059A0D0E
	v_fma_f32 v103, v15, v6, v103                              // 0000000046AC: D1CB0067 059E0D0F
	v_mul_f32_dpp v6, v24, v59 row_newbcast:0 row_mask:0xf bank_mask:0xf// 0000000046B4: 0A0C76FA FF015018
	v_mfma_f32_16x16x32_fp8_fp8 v[12:15], a[128:129], a[120:121], 0// 0000000046BC: D3F3000C 1A02F180
	v_mfma_f32_16x16x32_fp8_fp8 v[12:15], a[130:131], a[122:123], v[12:15]// 0000000046C4: D3F3000C 1C32F582
	buffer_load_dword v68, s[20:23], 0 offen lds               // 0000000046CC: E0511000 80050044
	s_add_u32 m0, 0x900, s49                                   // 0000000046D4: 807C31FF 00000900
	v_mfma_f32_16x16x32_fp8_fp8 v[12:15], a[132:133], a[124:125], v[12:15]// 0000000046DC: D3F3000C 1C32F984
	v_mfma_f32_16x16x32_fp8_fp8 v[12:15], a[134:135], a[126:127], v[12:15]// 0000000046E4: D3F3000C 1C32FD86
	buffer_load_dword v69, s[20:23], 0 offen lds               // 0000000046EC: E0511000 80050045
	s_add_u32 m0, 0xa00, s49                                   // 0000000046F4: 807C31FF 00000A00
	v_fma_f32 v104, v8, v4, v104                               // 0000000046FC: D1CB0068 05A20908
	v_fma_f32 v105, v9, v4, v105                               // 000000004704: D1CB0069 05A60909
	v_fma_f32 v106, v10, v4, v106                              // 00000000470C: D1CB006A 05AA090A
	v_fma_f32 v107, v11, v4, v107                              // 000000004714: D1CB006B 05AE090B
	s_waitcnt vmcnt(15)                                        // 00000000471C: BF8C0F7F
	v_mul_f32_dpp v4, v24, v52 row_newbcast:0 row_mask:0xf bank_mask:0xf// 000000004720: 0A0868FA FF015018
	v_mfma_f32_16x16x32_fp8_fp8 v[8:11], a[136:137], a[64:65], 0// 000000004728: D3F30008 1A028188
	v_mfma_f32_16x16x32_fp8_fp8 v[8:11], a[138:139], a[66:67], v[8:11]// 000000004730: D3F30008 1C22858A
	buffer_load_dword v70, s[20:23], 0 offen lds               // 000000004738: E0511000 80050046
	s_add_u32 m0, 0xb00, s49                                   // 000000004740: 807C31FF 00000B00
	v_mfma_f32_16x16x32_fp8_fp8 v[8:11], a[140:141], a[68:69], v[8:11]// 000000004748: D3F30008 1C22898C
	v_mfma_f32_16x16x32_fp8_fp8 v[8:11], a[142:143], a[70:71], v[8:11]// 000000004750: D3F30008 1C228D8E
	buffer_load_dword v71, s[20:23], 0 offen lds               // 000000004758: E0511000 80050047
	s_add_u32 m0, 0xc00, s49                                   // 000000004760: 807C31FF 00000C00
	v_fma_f32 v108, v12, v6, v108                              // 000000004768: D1CB006C 05B20D0C
	v_fma_f32 v109, v13, v6, v109                              // 000000004770: D1CB006D 05B60D0D
	v_fma_f32 v110, v14, v6, v110                              // 000000004778: D1CB006E 05BA0D0E
	v_fma_f32 v111, v15, v6, v111                              // 000000004780: D1CB006F 05BE0D0F
	v_mul_f32_dpp v6, v24, v53 row_newbcast:0 row_mask:0xf bank_mask:0xf// 000000004788: 0A0C6AFA FF015018
	v_mfma_f32_16x16x32_fp8_fp8 v[12:15], a[136:137], a[72:73], 0// 000000004790: D3F3000C 1A029188
	v_mfma_f32_16x16x32_fp8_fp8 v[12:15], a[138:139], a[74:75], v[12:15]// 000000004798: D3F3000C 1C32958A
	buffer_load_dword v72, s[20:23], 0 offen lds               // 0000000047A0: E0511000 80050048
	s_add_u32 m0, 0xd00, s49                                   // 0000000047A8: 807C31FF 00000D00
	v_mfma_f32_16x16x32_fp8_fp8 v[12:15], a[140:141], a[76:77], v[12:15]// 0000000047B0: D3F3000C 1C32998C
	v_mfma_f32_16x16x32_fp8_fp8 v[12:15], a[142:143], a[78:79], v[12:15]// 0000000047B8: D3F3000C 1C329D8E
	buffer_load_dword v73, s[20:23], 0 offen lds               // 0000000047C0: E0511000 80050049
	s_add_u32 m0, 0xe00, s49                                   // 0000000047C8: 807C31FF 00000E00
	v_fma_f32 v112, v8, v4, v112                               // 0000000047D0: D1CB0070 05C20908
	v_fma_f32 v113, v9, v4, v113                               // 0000000047D8: D1CB0071 05C60909
	v_fma_f32 v114, v10, v4, v114                              // 0000000047E0: D1CB0072 05CA090A
	v_fma_f32 v115, v11, v4, v115                              // 0000000047E8: D1CB0073 05CE090B
	v_mul_f32_dpp v4, v24, v54 row_newbcast:0 row_mask:0xf bank_mask:0xf// 0000000047F0: 0A086CFA FF015018
	v_mfma_f32_16x16x32_fp8_fp8 v[8:11], a[136:137], a[80:81], 0// 0000000047F8: D3F30008 1A02A188
	v_mfma_f32_16x16x32_fp8_fp8 v[8:11], a[138:139], a[82:83], v[8:11]// 000000004800: D3F30008 1C22A58A
	buffer_load_dword v74, s[20:23], 0 offen lds               // 000000004808: E0511000 8005004A
	s_add_u32 m0, 0xf00, s49                                   // 000000004810: 807C31FF 00000F00
	v_mfma_f32_16x16x32_fp8_fp8 v[8:11], a[140:141], a[84:85], v[8:11]// 000000004818: D3F30008 1C22A98C
	v_mfma_f32_16x16x32_fp8_fp8 v[8:11], a[142:143], a[86:87], v[8:11]// 000000004820: D3F30008 1C22AD8E
	buffer_load_dword v75, s[20:23], 0 offen lds               // 000000004828: E0511000 8005004B
	s_add_u32 m0, 0, s48                                       // 000000004830: 807C3080
	v_fma_f32 v116, v12, v6, v116                              // 000000004834: D1CB0074 05D20D0C
	v_fma_f32 v117, v13, v6, v117                              // 00000000483C: D1CB0075 05D60D0D
	v_fma_f32 v118, v14, v6, v118                              // 000000004844: D1CB0076 05DA0D0E
	v_fma_f32 v119, v15, v6, v119                              // 00000000484C: D1CB0077 05DE0D0F
	v_mul_f32_dpp v6, v24, v55 row_newbcast:0 row_mask:0xf bank_mask:0xf// 000000004854: 0A0C6EFA FF015018
	v_mfma_f32_16x16x32_fp8_fp8 v[12:15], a[136:137], a[88:89], 0// 00000000485C: D3F3000C 1A02B188
	v_mfma_f32_16x16x32_fp8_fp8 v[12:15], a[138:139], a[90:91], v[12:15]// 000000004864: D3F3000C 1C32B58A
	buffer_load_dword v44, v28, s[28:31], 0 offen              // 00000000486C: E0501000 80072C1C
	v_mfma_f32_16x16x32_fp8_fp8 v[12:15], a[140:141], a[92:93], v[12:15]// 000000004874: D3F3000C 1C32B98C
	v_mfma_f32_16x16x32_fp8_fp8 v[12:15], a[142:143], a[94:95], v[12:15]// 00000000487C: D3F3000C 1C32BD8E
	buffer_load_dword v45, v29, s[28:31], 0 offen              // 000000004884: E0501000 80072D1D
	v_fma_f32 v120, v8, v4, v120                               // 00000000488C: D1CB0078 05E20908
	v_fma_f32 v121, v9, v4, v121                               // 000000004894: D1CB0079 05E60909
	v_fma_f32 v122, v10, v4, v122                              // 00000000489C: D1CB007A 05EA090A
	v_fma_f32 v123, v11, v4, v123                              // 0000000048A4: D1CB007B 05EE090B
	v_mul_f32_dpp v4, v24, v56 row_newbcast:0 row_mask:0xf bank_mask:0xf// 0000000048AC: 0A0870FA FF015018
	v_mfma_f32_16x16x32_fp8_fp8 v[8:11], a[136:137], a[96:97], 0// 0000000048B4: D3F30008 1A02C188
	v_mfma_f32_16x16x32_fp8_fp8 v[8:11], a[138:139], a[98:99], v[8:11]// 0000000048BC: D3F30008 1C22C58A
	buffer_load_dword v46, v30, s[28:31], 0 offen              // 0000000048C4: E0501000 80072E1E
	v_mfma_f32_16x16x32_fp8_fp8 v[8:11], a[140:141], a[100:101], v[8:11]// 0000000048CC: D3F30008 1C22C98C
	v_mfma_f32_16x16x32_fp8_fp8 v[8:11], a[142:143], a[102:103], v[8:11]// 0000000048D4: D3F30008 1C22CD8E
	buffer_load_dword v47, v31, s[28:31], 0 offen              // 0000000048DC: E0501000 80072F1F
	v_fma_f32 v124, v12, v6, v124                              // 0000000048E4: D1CB007C 05F20D0C
	v_fma_f32 v125, v13, v6, v125                              // 0000000048EC: D1CB007D 05F60D0D
	v_fma_f32 v126, v14, v6, v126                              // 0000000048F4: D1CB007E 05FA0D0E
	v_fma_f32 v127, v15, v6, v127                              // 0000000048FC: D1CB007F 05FE0D0F
	v_mul_f32_dpp v6, v24, v57 row_newbcast:0 row_mask:0xf bank_mask:0xf// 000000004904: 0A0C72FA FF015018
	v_mfma_f32_16x16x32_fp8_fp8 v[12:15], a[136:137], a[104:105], 0// 00000000490C: D3F3000C 1A02D188
	v_mfma_f32_16x16x32_fp8_fp8 v[12:15], a[138:139], a[106:107], v[12:15]// 000000004914: D3F3000C 1C32D58A
	buffer_load_dword v48, v32, s[28:31], 0 offen              // 00000000491C: E0501000 80073020
	v_mfma_f32_16x16x32_fp8_fp8 v[12:15], a[140:141], a[108:109], v[12:15]// 000000004924: D3F3000C 1C32D98C
	v_mfma_f32_16x16x32_fp8_fp8 v[12:15], a[142:143], a[110:111], v[12:15]// 00000000492C: D3F3000C 1C32DD8E
	buffer_load_dword v49, v33, s[28:31], 0 offen              // 000000004934: E0501000 80073121
	v_fma_f32 v128, v8, v4, v128                               // 00000000493C: D1CB0080 06020908
	v_fma_f32 v129, v9, v4, v129                               // 000000004944: D1CB0081 06060909
	v_fma_f32 v130, v10, v4, v130                              // 00000000494C: D1CB0082 060A090A
	v_fma_f32 v131, v11, v4, v131                              // 000000004954: D1CB0083 060E090B
	v_mul_f32_dpp v4, v24, v58 row_newbcast:0 row_mask:0xf bank_mask:0xf// 00000000495C: 0A0874FA FF015018
	v_mfma_f32_16x16x32_fp8_fp8 v[8:11], a[136:137], a[112:113], 0// 000000004964: D3F30008 1A02E188
	v_mfma_f32_16x16x32_fp8_fp8 v[8:11], a[138:139], a[114:115], v[8:11]// 00000000496C: D3F30008 1C22E58A
	buffer_load_dword v50, v34, s[28:31], 0 offen              // 000000004974: E0501000 80073222
	v_mfma_f32_16x16x32_fp8_fp8 v[8:11], a[140:141], a[116:117], v[8:11]// 00000000497C: D3F30008 1C22E98C
	v_mfma_f32_16x16x32_fp8_fp8 v[8:11], a[142:143], a[118:119], v[8:11]// 000000004984: D3F30008 1C22ED8E
	buffer_load_dword v51, v35, s[28:31], 0 offen              // 00000000498C: E0501000 80073323
	v_fma_f32 v132, v12, v6, v132                              // 000000004994: D1CB0084 06120D0C
	v_fma_f32 v133, v13, v6, v133                              // 00000000499C: D1CB0085 06160D0D
	v_fma_f32 v134, v14, v6, v134                              // 0000000049A4: D1CB0086 061A0D0E
	v_fma_f32 v135, v15, v6, v135                              // 0000000049AC: D1CB0087 061E0D0F
	v_mul_f32_dpp v6, v24, v59 row_newbcast:0 row_mask:0xf bank_mask:0xf// 0000000049B4: 0A0C76FA FF015018
	v_mfma_f32_16x16x32_fp8_fp8 v[12:15], a[136:137], a[120:121], 0// 0000000049BC: D3F3000C 1A02F188
	v_mfma_f32_16x16x32_fp8_fp8 v[12:15], a[138:139], a[122:123], v[12:15]// 0000000049C4: D3F3000C 1C32F58A
	s_add_u32 s60, 0x80, s80                                   // 0000000049CC: 803C50FF 00000080
	s_cmp_lt_u32 s60, s81                                      // 0000000049D4: BF0A513C
	s_cselect_b32 s83, s83, 0                                  // 0000000049D8: 85538053
	s_cselect_b32 s4, s4, 0                                    // 0000000049DC: 85048004
	v_mfma_f32_16x16x32_fp8_fp8 v[12:15], a[140:141], a[124:125], v[12:15]// 0000000049E0: D3F3000C 1C32F98C
	s_add_u32 s32, s4, s32                                     // 0000000049E8: 80202004
	s_addc_u32 s33, 0, s33                                     // 0000000049EC: 82212180
	v_mfma_f32_16x16x32_fp8_fp8 v[12:15], a[142:143], a[126:127], v[12:15]// 0000000049F0: D3F3000C 1C32FD8E
	v_fma_f32 v136, v8, v4, v136                               // 0000000049F8: D1CB0088 06220908
	v_fma_f32 v137, v9, v4, v137                               // 000000004A00: D1CB0089 06260909
	v_fma_f32 v138, v10, v4, v138                              // 000000004A08: D1CB008A 062A090A
	v_fma_f32 v139, v11, v4, v139                              // 000000004A10: D1CB008B 062E090B
	v_fma_f32 v140, v12, v6, v140                              // 000000004A18: D1CB008C 06320D0C
	v_fma_f32 v141, v13, v6, v141                              // 000000004A20: D1CB008D 06360D0D
	v_fma_f32 v142, v14, v6, v142                              // 000000004A28: D1CB008E 063A0D0E
	v_fma_f32 v143, v15, v6, v143                              // 000000004A30: D1CB008F 063E0D0F
	s_waitcnt vmcnt(24)                                        // 000000004A38: BF8C4F78
	v_mul_f32_dpp v4, v27, v52 row_newbcast:0 row_mask:0xf bank_mask:0xf// 000000004A3C: 0A0868FA FF01501B
	v_mfma_f32_16x16x32_fp8_fp8 v[8:11], a[144:145], a[64:65], 0// 000000004A44: D3F30008 1A028190
	buffer_load_dword v24, v22, s[32:35], 0 offen              // 000000004A4C: E0501000 80081816
	v_mfma_f32_16x16x32_fp8_fp8 v[8:11], a[146:147], a[66:67], v[8:11]// 000000004A54: D3F30008 1C228592
	buffer_load_dwordx4 a[128:131], v76, s[24:27], 0 offen     // 000000004A5C: E05C1000 8086804C
	v_mfma_f32_16x16x32_fp8_fp8 v[8:11], a[148:149], a[68:69], v[8:11]// 000000004A64: D3F30008 1C228994
	v_mfma_f32_16x16x32_fp8_fp8 v[8:11], a[150:151], a[70:71], v[8:11]// 000000004A6C: D3F30008 1C228D96
	ds_read_b128 a[0:3], v2                                    // 000000004A74: DBFE0000 00000002
	ds_read_b128 a[4:7], v2 offset:64                          // 000000004A7C: DBFE0040 04000002
	v_mfma_f32_16x16x32_fp8_fp8 v[12:15], a[152:153], a[64:65], 0// 000000004A84: D3F3000C 1A028198
	v_mfma_f32_16x16x32_fp8_fp8 v[12:15], a[154:155], a[66:67], v[12:15]// 000000004A8C: D3F3000C 1C32859A
	buffer_load_dwordx4 a[132:135], v76, s[24:27], 0 offen offset:1024// 000000004A94: E05C1400 8086844C
	v_mfma_f32_16x16x32_fp8_fp8 v[12:15], a[156:157], a[68:69], v[12:15]// 000000004A9C: D3F3000C 1C32899C
	v_mfma_f32_16x16x32_fp8_fp8 v[12:15], a[158:159], a[70:71], v[12:15]// 000000004AA4: D3F3000C 1C328D9E
	ds_read_b128 a[8:11], v2 offset:512                        // 000000004AAC: DBFE0200 08000002
	ds_read_b128 a[12:15], v2 offset:576                       // 000000004AB4: DBFE0240 0C000002
	v_fma_f32 v144, v8, v4, v144                               // 000000004ABC: D1CB0090 06420908
	v_fma_f32 v145, v9, v4, v145                               // 000000004AC4: D1CB0091 06460909
	v_fma_f32 v146, v10, v4, v146                              // 000000004ACC: D1CB0092 064A090A
	v_fma_f32 v147, v11, v4, v147                              // 000000004AD4: D1CB0093 064E090B
	v_mul_f32_dpp v6, v27, v53 row_newbcast:0 row_mask:0xf bank_mask:0xf// 000000004ADC: 0A0C6AFA FF01501B
	v_mfma_f32_16x16x32_fp8_fp8 v[8:11], a[144:145], a[72:73], 0// 000000004AE4: D3F30008 1A029190
	v_mfma_f32_16x16x32_fp8_fp8 v[8:11], a[146:147], a[74:75], v[8:11]// 000000004AEC: D3F30008 1C229592
	buffer_load_dwordx4 a[136:139], v77, s[24:27], 0 offen     // 000000004AF4: E05C1000 8086884D
	v_mfma_f32_16x16x32_fp8_fp8 v[8:11], a[148:149], a[76:77], v[8:11]// 000000004AFC: D3F30008 1C229994
	v_mfma_f32_16x16x32_fp8_fp8 v[8:11], a[150:151], a[78:79], v[8:11]// 000000004B04: D3F30008 1C229D96
	ds_read_b128 a[16:19], v2 offset:1024                      // 000000004B0C: DBFE0400 10000002
	ds_read_b128 a[20:23], v2 offset:1088                      // 000000004B14: DBFE0440 14000002
	v_fma_f32 v176, v12, v4, v176                              // 000000004B1C: D1CB00B0 06C2090C
	v_fma_f32 v177, v13, v4, v177                              // 000000004B24: D1CB00B1 06C6090D
	v_fma_f32 v178, v14, v4, v178                              // 000000004B2C: D1CB00B2 06CA090E
	v_fma_f32 v179, v15, v4, v179                              // 000000004B34: D1CB00B3 06CE090F
	v_mfma_f32_16x16x32_fp8_fp8 v[12:15], a[152:153], a[72:73], 0// 000000004B3C: D3F3000C 1A029198
	v_mfma_f32_16x16x32_fp8_fp8 v[12:15], a[154:155], a[74:75], v[12:15]// 000000004B44: D3F3000C 1C32959A
	buffer_load_dwordx4 a[140:143], v77, s[24:27], 0 offen offset:1024// 000000004B4C: E05C1400 80868C4D
	v_mfma_f32_16x16x32_fp8_fp8 v[12:15], a[156:157], a[76:77], v[12:15]// 000000004B54: D3F3000C 1C32999C
	v_mfma_f32_16x16x32_fp8_fp8 v[12:15], a[158:159], a[78:79], v[12:15]// 000000004B5C: D3F3000C 1C329D9E
	ds_read_b128 a[24:27], v2 offset:1536                      // 000000004B64: DBFE0600 18000002
	ds_read_b128 a[28:31], v2 offset:1600                      // 000000004B6C: DBFE0640 1C000002
	v_fma_f32 v148, v8, v6, v148                               // 000000004B74: D1CB0094 06520D08
	v_fma_f32 v149, v9, v6, v149                               // 000000004B7C: D1CB0095 06560D09
	v_fma_f32 v150, v10, v6, v150                              // 000000004B84: D1CB0096 065A0D0A
	v_fma_f32 v151, v11, v6, v151                              // 000000004B8C: D1CB0097 065E0D0B
	v_mul_f32_dpp v4, v27, v54 row_newbcast:0 row_mask:0xf bank_mask:0xf// 000000004B94: 0A086CFA FF01501B
	v_mfma_f32_16x16x32_fp8_fp8 v[8:11], a[144:145], a[80:81], 0// 000000004B9C: D3F30008 1A02A190
	v_mfma_f32_16x16x32_fp8_fp8 v[8:11], a[146:147], a[82:83], v[8:11]// 000000004BA4: D3F30008 1C22A592
	v_mfma_f32_16x16x32_fp8_fp8 v[8:11], a[148:149], a[84:85], v[8:11]// 000000004BAC: D3F30008 1C22A994
	v_mfma_f32_16x16x32_fp8_fp8 v[8:11], a[150:151], a[86:87], v[8:11]// 000000004BB4: D3F30008 1C22AD96
	ds_read_b128 a[32:35], v2 offset:2048                      // 000000004BBC: DBFE0800 20000002
	ds_read_b128 a[36:39], v2 offset:2112                      // 000000004BC4: DBFE0840 24000002
	v_fma_f32 v180, v12, v6, v180                              // 000000004BCC: D1CB00B4 06D20D0C
	v_fma_f32 v181, v13, v6, v181                              // 000000004BD4: D1CB00B5 06D60D0D
	v_fma_f32 v182, v14, v6, v182                              // 000000004BDC: D1CB00B6 06DA0D0E
	v_fma_f32 v183, v15, v6, v183                              // 000000004BE4: D1CB00B7 06DE0D0F
	v_mfma_f32_16x16x32_fp8_fp8 v[12:15], a[152:153], a[80:81], 0// 000000004BEC: D3F3000C 1A02A198
	v_mfma_f32_16x16x32_fp8_fp8 v[12:15], a[154:155], a[82:83], v[12:15]// 000000004BF4: D3F3000C 1C32A59A
	v_mfma_f32_16x16x32_fp8_fp8 v[12:15], a[156:157], a[84:85], v[12:15]// 000000004BFC: D3F3000C 1C32A99C
	v_mfma_f32_16x16x32_fp8_fp8 v[12:15], a[158:159], a[86:87], v[12:15]// 000000004C04: D3F3000C 1C32AD9E
	ds_read_b128 a[40:43], v2 offset:2560                      // 000000004C0C: DBFE0A00 28000002
	ds_read_b128 a[44:47], v2 offset:2624                      // 000000004C14: DBFE0A40 2C000002
	v_fma_f32 v152, v8, v4, v152                               // 000000004C1C: D1CB0098 06620908
	v_fma_f32 v153, v9, v4, v153                               // 000000004C24: D1CB0099 06660909
	v_fma_f32 v154, v10, v4, v154                              // 000000004C2C: D1CB009A 066A090A
	v_fma_f32 v155, v11, v4, v155                              // 000000004C34: D1CB009B 066E090B
	v_mul_f32_dpp v6, v27, v55 row_newbcast:0 row_mask:0xf bank_mask:0xf// 000000004C3C: 0A0C6EFA FF01501B
	v_mfma_f32_16x16x32_fp8_fp8 v[8:11], a[144:145], a[88:89], 0// 000000004C44: D3F30008 1A02B190
	v_mfma_f32_16x16x32_fp8_fp8 v[8:11], a[146:147], a[90:91], v[8:11]// 000000004C4C: D3F30008 1C22B592
	v_mfma_f32_16x16x32_fp8_fp8 v[8:11], a[148:149], a[92:93], v[8:11]// 000000004C54: D3F30008 1C22B994
	v_mfma_f32_16x16x32_fp8_fp8 v[8:11], a[150:151], a[94:95], v[8:11]// 000000004C5C: D3F30008 1C22BD96
	ds_read_b128 a[48:51], v2 offset:3072                      // 000000004C64: DBFE0C00 30000002
	ds_read_b128 a[52:55], v2 offset:3136                      // 000000004C6C: DBFE0C40 34000002
	v_fma_f32 v184, v12, v4, v184                              // 000000004C74: D1CB00B8 06E2090C
	v_fma_f32 v185, v13, v4, v185                              // 000000004C7C: D1CB00B9 06E6090D
	v_fma_f32 v186, v14, v4, v186                              // 000000004C84: D1CB00BA 06EA090E
	v_fma_f32 v187, v15, v4, v187                              // 000000004C8C: D1CB00BB 06EE090F
	v_mfma_f32_16x16x32_fp8_fp8 v[12:15], a[152:153], a[88:89], 0// 000000004C94: D3F3000C 1A02B198
	v_mfma_f32_16x16x32_fp8_fp8 v[12:15], a[154:155], a[90:91], v[12:15]// 000000004C9C: D3F3000C 1C32B59A
	v_mfma_f32_16x16x32_fp8_fp8 v[12:15], a[156:157], a[92:93], v[12:15]// 000000004CA4: D3F3000C 1C32B99C
	v_mfma_f32_16x16x32_fp8_fp8 v[12:15], a[158:159], a[94:95], v[12:15]// 000000004CAC: D3F3000C 1C32BD9E
	ds_read_b128 a[56:59], v2 offset:3584                      // 000000004CB4: DBFE0E00 38000002
	ds_read_b128 a[60:63], v2 offset:3648                      // 000000004CBC: DBFE0E40 3C000002
	v_fma_f32 v156, v8, v6, v156                               // 000000004CC4: D1CB009C 06720D08
	v_fma_f32 v157, v9, v6, v157                               // 000000004CCC: D1CB009D 06760D09
	v_fma_f32 v158, v10, v6, v158                              // 000000004CD4: D1CB009E 067A0D0A
	v_fma_f32 v159, v11, v6, v159                              // 000000004CDC: D1CB009F 067E0D0B
	v_mul_f32_dpp v4, v27, v56 row_newbcast:0 row_mask:0xf bank_mask:0xf// 000000004CE4: 0A0870FA FF01501B
	v_mfma_f32_16x16x32_fp8_fp8 v[8:11], a[144:145], a[96:97], 0// 000000004CEC: D3F30008 1A02C190
	v_mfma_f32_16x16x32_fp8_fp8 v[8:11], a[146:147], a[98:99], v[8:11]// 000000004CF4: D3F30008 1C22C592
	v_mfma_f32_16x16x32_fp8_fp8 v[8:11], a[148:149], a[100:101], v[8:11]// 000000004CFC: D3F30008 1C22C994
	v_mfma_f32_16x16x32_fp8_fp8 v[8:11], a[150:151], a[102:103], v[8:11]// 000000004D04: D3F30008 1C22CD96
	v_fma_f32 v188, v12, v6, v188                              // 000000004D0C: D1CB00BC 06F20D0C
	v_fma_f32 v189, v13, v6, v189                              // 000000004D14: D1CB00BD 06F60D0D
	v_fma_f32 v190, v14, v6, v190                              // 000000004D1C: D1CB00BE 06FA0D0E
	v_fma_f32 v191, v15, v6, v191                              // 000000004D24: D1CB00BF 06FE0D0F
	v_mfma_f32_16x16x32_fp8_fp8 v[12:15], a[152:153], a[96:97], 0// 000000004D2C: D3F3000C 1A02C198
	v_mfma_f32_16x16x32_fp8_fp8 v[12:15], a[154:155], a[98:99], v[12:15]// 000000004D34: D3F3000C 1C32C59A
	v_mfma_f32_16x16x32_fp8_fp8 v[12:15], a[156:157], a[100:101], v[12:15]// 000000004D3C: D3F3000C 1C32C99C
	v_mfma_f32_16x16x32_fp8_fp8 v[12:15], a[158:159], a[102:103], v[12:15]// 000000004D44: D3F3000C 1C32CD9E
	v_fma_f32 v160, v8, v4, v160                               // 000000004D4C: D1CB00A0 06820908
	v_fma_f32 v161, v9, v4, v161                               // 000000004D54: D1CB00A1 06860909
	v_fma_f32 v162, v10, v4, v162                              // 000000004D5C: D1CB00A2 068A090A
	v_fma_f32 v163, v11, v4, v163                              // 000000004D64: D1CB00A3 068E090B
	v_mul_f32_dpp v6, v27, v57 row_newbcast:0 row_mask:0xf bank_mask:0xf// 000000004D6C: 0A0C72FA FF01501B
	v_mfma_f32_16x16x32_fp8_fp8 v[8:11], a[144:145], a[104:105], 0// 000000004D74: D3F30008 1A02D190
	v_mfma_f32_16x16x32_fp8_fp8 v[8:11], a[146:147], a[106:107], v[8:11]// 000000004D7C: D3F30008 1C22D592
	v_mfma_f32_16x16x32_fp8_fp8 v[8:11], a[148:149], a[108:109], v[8:11]// 000000004D84: D3F30008 1C22D994
	v_mfma_f32_16x16x32_fp8_fp8 v[8:11], a[150:151], a[110:111], v[8:11]// 000000004D8C: D3F30008 1C22DD96
	v_fma_f32 v192, v12, v4, v192                              // 000000004D94: D1CB00C0 0702090C
	v_fma_f32 v193, v13, v4, v193                              // 000000004D9C: D1CB00C1 0706090D
	v_fma_f32 v194, v14, v4, v194                              // 000000004DA4: D1CB00C2 070A090E
	v_fma_f32 v195, v15, v4, v195                              // 000000004DAC: D1CB00C3 070E090F
	v_mfma_f32_16x16x32_fp8_fp8 v[12:15], a[152:153], a[104:105], 0// 000000004DB4: D3F3000C 1A02D198
	v_mfma_f32_16x16x32_fp8_fp8 v[12:15], a[154:155], a[106:107], v[12:15]// 000000004DBC: D3F3000C 1C32D59A
	v_mfma_f32_16x16x32_fp8_fp8 v[12:15], a[156:157], a[108:109], v[12:15]// 000000004DC4: D3F3000C 1C32D99C
	v_mfma_f32_16x16x32_fp8_fp8 v[12:15], a[158:159], a[110:111], v[12:15]// 000000004DCC: D3F3000C 1C32DD9E
	v_fma_f32 v164, v8, v6, v164                               // 000000004DD4: D1CB00A4 06920D08
	v_fma_f32 v165, v9, v6, v165                               // 000000004DDC: D1CB00A5 06960D09
	v_fma_f32 v166, v10, v6, v166                              // 000000004DE4: D1CB00A6 069A0D0A
	v_fma_f32 v167, v11, v6, v167                              // 000000004DEC: D1CB00A7 069E0D0B
	v_mul_f32_dpp v4, v27, v58 row_newbcast:0 row_mask:0xf bank_mask:0xf// 000000004DF4: 0A0874FA FF01501B
	v_mfma_f32_16x16x32_fp8_fp8 v[8:11], a[144:145], a[112:113], 0// 000000004DFC: D3F30008 1A02E190
	v_mfma_f32_16x16x32_fp8_fp8 v[8:11], a[146:147], a[114:115], v[8:11]// 000000004E04: D3F30008 1C22E592
	v_mfma_f32_16x16x32_fp8_fp8 v[8:11], a[148:149], a[116:117], v[8:11]// 000000004E0C: D3F30008 1C22E994
	v_mfma_f32_16x16x32_fp8_fp8 v[8:11], a[150:151], a[118:119], v[8:11]// 000000004E14: D3F30008 1C22ED96
	v_fma_f32 v196, v12, v6, v196                              // 000000004E1C: D1CB00C4 07120D0C
	v_fma_f32 v197, v13, v6, v197                              // 000000004E24: D1CB00C5 07160D0D
	v_fma_f32 v198, v14, v6, v198                              // 000000004E2C: D1CB00C6 071A0D0E
	v_fma_f32 v199, v15, v6, v199                              // 000000004E34: D1CB00C7 071E0D0F
	v_mfma_f32_16x16x32_fp8_fp8 v[12:15], a[152:153], a[112:113], 0// 000000004E3C: D3F3000C 1A02E198
	v_mfma_f32_16x16x32_fp8_fp8 v[12:15], a[154:155], a[114:115], v[12:15]// 000000004E44: D3F3000C 1C32E59A
	v_mfma_f32_16x16x32_fp8_fp8 v[12:15], a[156:157], a[116:117], v[12:15]// 000000004E4C: D3F3000C 1C32E99C
	v_mfma_f32_16x16x32_fp8_fp8 v[12:15], a[158:159], a[118:119], v[12:15]// 000000004E54: D3F3000C 1C32ED9E
	v_fma_f32 v168, v8, v4, v168                               // 000000004E5C: D1CB00A8 06A20908
	v_fma_f32 v169, v9, v4, v169                               // 000000004E64: D1CB00A9 06A60909
	v_fma_f32 v170, v10, v4, v170                              // 000000004E6C: D1CB00AA 06AA090A
	v_fma_f32 v171, v11, v4, v171                              // 000000004E74: D1CB00AB 06AE090B
	v_mul_f32_dpp v6, v27, v59 row_newbcast:0 row_mask:0xf bank_mask:0xf// 000000004E7C: 0A0C76FA FF01501B
	v_mfma_f32_16x16x32_fp8_fp8 v[8:11], a[144:145], a[120:121], 0// 000000004E84: D3F30008 1A02F190
	v_mfma_f32_16x16x32_fp8_fp8 v[8:11], a[146:147], a[122:123], v[8:11]// 000000004E8C: D3F30008 1C22F592
	v_mfma_f32_16x16x32_fp8_fp8 v[8:11], a[148:149], a[124:125], v[8:11]// 000000004E94: D3F30008 1C22F994
	s_add_u32 s60, 0x180, s80                                  // 000000004E9C: 803C50FF 00000180
	s_cmp_lt_u32 s60, s81                                      // 000000004EA4: BF0A513C
	s_cselect_b32 s57, s57, 0                                  // 000000004EA8: 85398039
	s_cselect_b32 s3, s3, 0                                    // 000000004EAC: 85038003
	v_mfma_f32_16x16x32_fp8_fp8 v[8:11], a[150:151], a[126:127], v[8:11]// 000000004EB0: D3F30008 1C22FD96
	s_add_u32 s60, 0x100, s80                                  // 000000004EB8: 803C50FF 00000100
	s_cmp_lt_u32 s60, s81                                      // 000000004EC0: BF0A513C
	s_cselect_b32 s58, s58, 0                                  // 000000004EC4: 853A803A
	v_fma_f32 v200, v12, v4, v200                              // 000000004EC8: D1CB00C8 0722090C
	v_fma_f32 v201, v13, v4, v201                              // 000000004ED0: D1CB00C9 0726090D
	v_fma_f32 v202, v14, v4, v202                              // 000000004ED8: D1CB00CA 072A090E
	v_fma_f32 v203, v15, v4, v203                              // 000000004EE0: D1CB00CB 072E090F
	v_mfma_f32_16x16x32_fp8_fp8 v[12:15], a[152:153], a[120:121], 0// 000000004EE8: D3F3000C 1A02F198
	s_add_u32 s24, s58, s24                                    // 000000004EF0: 8018183A
	s_addc_u32 s25, 0, s25                                     // 000000004EF4: 82191980
	v_mfma_f32_16x16x32_fp8_fp8 v[12:15], a[154:155], a[122:123], v[12:15]// 000000004EF8: D3F3000C 1C32F59A
	s_add_u32 s20, s57, s20                                    // 000000004F00: 80141439
	s_addc_u32 s21, 0, s21                                     // 000000004F04: 82151580
	s_add_u32 s28, s3, s28                                     // 000000004F08: 801C1C03
	s_addc_u32 s29, 0, s29                                     // 000000004F0C: 821D1D80
	v_mfma_f32_16x16x32_fp8_fp8 v[12:15], a[156:157], a[124:125], v[12:15]// 000000004F10: D3F3000C 1C32F99C
	s_add_u32 s84, s83, s84                                    // 000000004F18: 80545453
	s_addc_u32 s85, 0, s85                                     // 000000004F1C: 82555580
	v_mfma_f32_16x16x32_fp8_fp8 v[12:15], a[158:159], a[126:127], v[12:15]// 000000004F20: D3F3000C 1C32FD9E
	v_fma_f32 v172, v8, v6, v172                               // 000000004F28: D1CB00AC 06B20D08
	v_fma_f32 v173, v9, v6, v173                               // 000000004F30: D1CB00AD 06B60D09
	v_fma_f32 v174, v10, v6, v174                              // 000000004F38: D1CB00AE 06BA0D0A
	v_fma_f32 v175, v11, v6, v175                              // 000000004F40: D1CB00AF 06BE0D0B
	v_fma_f32 v204, v12, v6, v204                              // 000000004F48: D1CB00CC 07320D0C
	v_fma_f32 v205, v13, v6, v205                              // 000000004F50: D1CB00CD 07360D0D
	v_fma_f32 v206, v14, v6, v206                              // 000000004F58: D1CB00CE 073A0D0E
	v_fma_f32 v207, v15, v6, v207                              // 000000004F60: D1CB00CF 073E0D0F
	s_addk_i32 s80, 0x80                                       // 000000004F68: B7500080
	s_cmp_lt_i32 s80, s81                                      // 000000004F6C: BF045150
	s_cbranch_scc0 label_095E                                  // 000000004F70: BF840001
	s_branch label_03A9                                        // 000000004F74: BF82FA4B

0000000000004f78 <label_095E>:
	s_cmp_eq_u32 s88, 0                                        // 000000004F78: BF068058
	s_cbranch_scc0 label_1413                                  // 000000004F7C: BF840AB3
	s_cmp_eq_u32 s89, 0                                        // 000000004F80: BF068059
	s_cbranch_scc1 label_0BE7                                  // 000000004F84: BF850285
	v_mov_b32_e32 v8, v1                                       // 000000004F88: 7E100301
	v_mov_b32_e32 v9, v1                                       // 000000004F8C: 7E120301
	s_mov_b32 s60, s6                                          // 000000004F90: BEBC0006
	s_mov_b32 s61, s6                                          // 000000004F94: BEBD0006
	v_pk_mul_f32 v[4:5], v[80:81], v[80:81]                    // 000000004F98: D3B14004 1802A150
	v_pk_mul_f32 v[6:7], v[82:83], v[82:83]                    // 000000004FA0: D3B14006 1802A552
	v_pk_fma_f32 v[4:5], v[4:5], s[78:79], v[8:9]              // 000000004FA8: D3B04004 1C209D04
	v_pk_fma_f32 v[6:7], v[6:7], s[78:79], v[8:9]              // 000000004FB0: D3B04006 1C209D06
	v_pk_mul_f32 v[4:5], v[4:5], v[80:81]                      // 000000004FB8: D3B14004 1802A104
	v_pk_mul_f32 v[6:7], v[6:7], v[82:83]                      // 000000004FC0: D3B14006 1802A506
	v_pk_mul_f32 v[4:5], v[4:5], s[60:61]                      // 000000004FC8: D3B14004 18007904
	v_pk_mul_f32 v[6:7], v[6:7], s[60:61]                      // 000000004FD0: D3B14006 18007906
	v_exp_f32_e32 v4, v4                                       // 000000004FD8: 7E084104
	v_exp_f32_e32 v5, v5                                       // 000000004FDC: 7E0A4105
	v_exp_f32_e32 v6, v6                                       // 000000004FE0: 7E0C4106
	v_exp_f32_e32 v7, v7                                       // 000000004FE4: 7E0E4107
	v_add_f32_e64 v4, v4, 1.0                                  // 000000004FE8: D1010004 0001E504
	v_add_f32_e64 v5, v5, 1.0                                  // 000000004FF0: D1010005 0001E505
	v_add_f32_e64 v6, v6, 1.0                                  // 000000004FF8: D1010006 0001E506
	v_add_f32_e64 v7, v7, 1.0                                  // 000000005000: D1010007 0001E507
	v_rcp_f32_e32 v4, v4                                       // 000000005008: 7E084504
	v_rcp_f32_e32 v5, v5                                       // 00000000500C: 7E0A4505
	v_rcp_f32_e32 v6, v6                                       // 000000005010: 7E0C4506
	v_rcp_f32_e32 v7, v7                                       // 000000005014: 7E0E4507
	v_mul_f32_e32 v80, v80, v4                                 // 000000005018: 0AA00950
	v_mul_f32_e32 v81, v81, v5                                 // 00000000501C: 0AA20B51
	v_mul_f32_e32 v82, v82, v6                                 // 000000005020: 0AA40D52
	v_mul_f32_e32 v83, v83, v7                                 // 000000005024: 0AA60F53
	v_mul_f32_e32 v80, v80, v144                               // 000000005028: 0AA12150
	v_mul_f32_e32 v81, v81, v145                               // 00000000502C: 0AA32351
	v_mul_f32_e32 v82, v82, v146                               // 000000005030: 0AA52552
	v_mul_f32_e32 v83, v83, v147                               // 000000005034: 0AA72753
	v_pk_mul_f32 v[4:5], v[84:85], v[84:85]                    // 000000005038: D3B14004 1802A954
	v_pk_mul_f32 v[6:7], v[86:87], v[86:87]                    // 000000005040: D3B14006 1802AD56
	v_pk_fma_f32 v[4:5], v[4:5], s[78:79], v[8:9]              // 000000005048: D3B04004 1C209D04
	v_pk_fma_f32 v[6:7], v[6:7], s[78:79], v[8:9]              // 000000005050: D3B04006 1C209D06
	v_pk_mul_f32 v[4:5], v[4:5], v[84:85]                      // 000000005058: D3B14004 1802A904
	v_pk_mul_f32 v[6:7], v[6:7], v[86:87]                      // 000000005060: D3B14006 1802AD06
	v_pk_mul_f32 v[4:5], v[4:5], s[60:61]                      // 000000005068: D3B14004 18007904
	v_pk_mul_f32 v[6:7], v[6:7], s[60:61]                      // 000000005070: D3B14006 18007906
	v_exp_f32_e32 v4, v4                                       // 000000005078: 7E084104
	v_exp_f32_e32 v5, v5                                       // 00000000507C: 7E0A4105
	v_exp_f32_e32 v6, v6                                       // 000000005080: 7E0C4106
	v_exp_f32_e32 v7, v7                                       // 000000005084: 7E0E4107
	v_add_f32_e64 v4, v4, 1.0                                  // 000000005088: D1010004 0001E504
	v_add_f32_e64 v5, v5, 1.0                                  // 000000005090: D1010005 0001E505
	v_add_f32_e64 v6, v6, 1.0                                  // 000000005098: D1010006 0001E506
	v_add_f32_e64 v7, v7, 1.0                                  // 0000000050A0: D1010007 0001E507
	v_rcp_f32_e32 v4, v4                                       // 0000000050A8: 7E084504
	v_rcp_f32_e32 v5, v5                                       // 0000000050AC: 7E0A4505
	v_rcp_f32_e32 v6, v6                                       // 0000000050B0: 7E0C4506
	v_rcp_f32_e32 v7, v7                                       // 0000000050B4: 7E0E4507
	v_mul_f32_e32 v84, v84, v4                                 // 0000000050B8: 0AA80954
	v_mul_f32_e32 v85, v85, v5                                 // 0000000050BC: 0AAA0B55
	v_mul_f32_e32 v86, v86, v6                                 // 0000000050C0: 0AAC0D56
	v_mul_f32_e32 v87, v87, v7                                 // 0000000050C4: 0AAE0F57
	v_mul_f32_e32 v84, v84, v148                               // 0000000050C8: 0AA92954
	v_mul_f32_e32 v85, v85, v149                               // 0000000050CC: 0AAB2B55
	v_mul_f32_e32 v86, v86, v150                               // 0000000050D0: 0AAD2D56
	v_mul_f32_e32 v87, v87, v151                               // 0000000050D4: 0AAF2F57
	v_pk_mul_f32 v[4:5], v[88:89], v[88:89]                    // 0000000050D8: D3B14004 1802B158
	v_pk_mul_f32 v[6:7], v[90:91], v[90:91]                    // 0000000050E0: D3B14006 1802B55A
	v_pk_fma_f32 v[4:5], v[4:5], s[78:79], v[8:9]              // 0000000050E8: D3B04004 1C209D04
	v_pk_fma_f32 v[6:7], v[6:7], s[78:79], v[8:9]              // 0000000050F0: D3B04006 1C209D06
	v_pk_mul_f32 v[4:5], v[4:5], v[88:89]                      // 0000000050F8: D3B14004 1802B104
	v_pk_mul_f32 v[6:7], v[6:7], v[90:91]                      // 000000005100: D3B14006 1802B506
	v_pk_mul_f32 v[4:5], v[4:5], s[60:61]                      // 000000005108: D3B14004 18007904
	v_pk_mul_f32 v[6:7], v[6:7], s[60:61]                      // 000000005110: D3B14006 18007906
	v_exp_f32_e32 v4, v4                                       // 000000005118: 7E084104
	v_exp_f32_e32 v5, v5                                       // 00000000511C: 7E0A4105
	v_exp_f32_e32 v6, v6                                       // 000000005120: 7E0C4106
	v_exp_f32_e32 v7, v7                                       // 000000005124: 7E0E4107
	v_add_f32_e64 v4, v4, 1.0                                  // 000000005128: D1010004 0001E504
	v_add_f32_e64 v5, v5, 1.0                                  // 000000005130: D1010005 0001E505
	v_add_f32_e64 v6, v6, 1.0                                  // 000000005138: D1010006 0001E506
	v_add_f32_e64 v7, v7, 1.0                                  // 000000005140: D1010007 0001E507
	v_rcp_f32_e32 v4, v4                                       // 000000005148: 7E084504
	v_rcp_f32_e32 v5, v5                                       // 00000000514C: 7E0A4505
	v_rcp_f32_e32 v6, v6                                       // 000000005150: 7E0C4506
	v_rcp_f32_e32 v7, v7                                       // 000000005154: 7E0E4507
	v_mul_f32_e32 v88, v88, v4                                 // 000000005158: 0AB00958
	v_mul_f32_e32 v89, v89, v5                                 // 00000000515C: 0AB20B59
	v_mul_f32_e32 v90, v90, v6                                 // 000000005160: 0AB40D5A
	v_mul_f32_e32 v91, v91, v7                                 // 000000005164: 0AB60F5B
	v_mul_f32_e32 v88, v88, v152                               // 000000005168: 0AB13158
	v_mul_f32_e32 v89, v89, v153                               // 00000000516C: 0AB33359
	v_mul_f32_e32 v90, v90, v154                               // 000000005170: 0AB5355A
	v_mul_f32_e32 v91, v91, v155                               // 000000005174: 0AB7375B
	v_pk_mul_f32 v[4:5], v[92:93], v[92:93]                    // 000000005178: D3B14004 1802B95C
	v_pk_mul_f32 v[6:7], v[94:95], v[94:95]                    // 000000005180: D3B14006 1802BD5E
	v_pk_fma_f32 v[4:5], v[4:5], s[78:79], v[8:9]              // 000000005188: D3B04004 1C209D04
	v_pk_fma_f32 v[6:7], v[6:7], s[78:79], v[8:9]              // 000000005190: D3B04006 1C209D06
	v_pk_mul_f32 v[4:5], v[4:5], v[92:93]                      // 000000005198: D3B14004 1802B904
	v_pk_mul_f32 v[6:7], v[6:7], v[94:95]                      // 0000000051A0: D3B14006 1802BD06
	v_pk_mul_f32 v[4:5], v[4:5], s[60:61]                      // 0000000051A8: D3B14004 18007904
	v_pk_mul_f32 v[6:7], v[6:7], s[60:61]                      // 0000000051B0: D3B14006 18007906
	v_exp_f32_e32 v4, v4                                       // 0000000051B8: 7E084104
	v_exp_f32_e32 v5, v5                                       // 0000000051BC: 7E0A4105
	v_exp_f32_e32 v6, v6                                       // 0000000051C0: 7E0C4106
	v_exp_f32_e32 v7, v7                                       // 0000000051C4: 7E0E4107
	v_add_f32_e64 v4, v4, 1.0                                  // 0000000051C8: D1010004 0001E504
	v_add_f32_e64 v5, v5, 1.0                                  // 0000000051D0: D1010005 0001E505
	v_add_f32_e64 v6, v6, 1.0                                  // 0000000051D8: D1010006 0001E506
	v_add_f32_e64 v7, v7, 1.0                                  // 0000000051E0: D1010007 0001E507
	v_rcp_f32_e32 v4, v4                                       // 0000000051E8: 7E084504
	v_rcp_f32_e32 v5, v5                                       // 0000000051EC: 7E0A4505
	v_rcp_f32_e32 v6, v6                                       // 0000000051F0: 7E0C4506
	v_rcp_f32_e32 v7, v7                                       // 0000000051F4: 7E0E4507
	v_mul_f32_e32 v92, v92, v4                                 // 0000000051F8: 0AB8095C
	v_mul_f32_e32 v93, v93, v5                                 // 0000000051FC: 0ABA0B5D
	v_mul_f32_e32 v94, v94, v6                                 // 000000005200: 0ABC0D5E
	v_mul_f32_e32 v95, v95, v7                                 // 000000005204: 0ABE0F5F
	v_mul_f32_e32 v92, v92, v156                               // 000000005208: 0AB9395C
	v_mul_f32_e32 v93, v93, v157                               // 00000000520C: 0ABB3B5D
	v_mul_f32_e32 v94, v94, v158                               // 000000005210: 0ABD3D5E
	v_mul_f32_e32 v95, v95, v159                               // 000000005214: 0ABF3F5F
	v_pk_mul_f32 v[4:5], v[96:97], v[96:97]                    // 000000005218: D3B14004 1802C160
	v_pk_mul_f32 v[6:7], v[98:99], v[98:99]                    // 000000005220: D3B14006 1802C562
	v_pk_fma_f32 v[4:5], v[4:5], s[78:79], v[8:9]              // 000000005228: D3B04004 1C209D04
	v_pk_fma_f32 v[6:7], v[6:7], s[78:79], v[8:9]              // 000000005230: D3B04006 1C209D06
	v_pk_mul_f32 v[4:5], v[4:5], v[96:97]                      // 000000005238: D3B14004 1802C104
	v_pk_mul_f32 v[6:7], v[6:7], v[98:99]                      // 000000005240: D3B14006 1802C506
	v_pk_mul_f32 v[4:5], v[4:5], s[60:61]                      // 000000005248: D3B14004 18007904
	v_pk_mul_f32 v[6:7], v[6:7], s[60:61]                      // 000000005250: D3B14006 18007906
	v_exp_f32_e32 v4, v4                                       // 000000005258: 7E084104
	v_exp_f32_e32 v5, v5                                       // 00000000525C: 7E0A4105
	v_exp_f32_e32 v6, v6                                       // 000000005260: 7E0C4106
	v_exp_f32_e32 v7, v7                                       // 000000005264: 7E0E4107
	v_add_f32_e64 v4, v4, 1.0                                  // 000000005268: D1010004 0001E504
	v_add_f32_e64 v5, v5, 1.0                                  // 000000005270: D1010005 0001E505
	v_add_f32_e64 v6, v6, 1.0                                  // 000000005278: D1010006 0001E506
	v_add_f32_e64 v7, v7, 1.0                                  // 000000005280: D1010007 0001E507
	v_rcp_f32_e32 v4, v4                                       // 000000005288: 7E084504
	v_rcp_f32_e32 v5, v5                                       // 00000000528C: 7E0A4505
	v_rcp_f32_e32 v6, v6                                       // 000000005290: 7E0C4506
	v_rcp_f32_e32 v7, v7                                       // 000000005294: 7E0E4507
	v_mul_f32_e32 v96, v96, v4                                 // 000000005298: 0AC00960
	v_mul_f32_e32 v97, v97, v5                                 // 00000000529C: 0AC20B61
	v_mul_f32_e32 v98, v98, v6                                 // 0000000052A0: 0AC40D62
	v_mul_f32_e32 v99, v99, v7                                 // 0000000052A4: 0AC60F63
	v_mul_f32_e32 v96, v96, v160                               // 0000000052A8: 0AC14160
	v_mul_f32_e32 v97, v97, v161                               // 0000000052AC: 0AC34361
	v_mul_f32_e32 v98, v98, v162                               // 0000000052B0: 0AC54562
	v_mul_f32_e32 v99, v99, v163                               // 0000000052B4: 0AC74763
	v_pk_mul_f32 v[4:5], v[100:101], v[100:101]                // 0000000052B8: D3B14004 1802C964
	v_pk_mul_f32 v[6:7], v[102:103], v[102:103]                // 0000000052C0: D3B14006 1802CD66
	v_pk_fma_f32 v[4:5], v[4:5], s[78:79], v[8:9]              // 0000000052C8: D3B04004 1C209D04
	v_pk_fma_f32 v[6:7], v[6:7], s[78:79], v[8:9]              // 0000000052D0: D3B04006 1C209D06
	v_pk_mul_f32 v[4:5], v[4:5], v[100:101]                    // 0000000052D8: D3B14004 1802C904
	v_pk_mul_f32 v[6:7], v[6:7], v[102:103]                    // 0000000052E0: D3B14006 1802CD06
	v_pk_mul_f32 v[4:5], v[4:5], s[60:61]                      // 0000000052E8: D3B14004 18007904
	v_pk_mul_f32 v[6:7], v[6:7], s[60:61]                      // 0000000052F0: D3B14006 18007906
	v_exp_f32_e32 v4, v4                                       // 0000000052F8: 7E084104
	v_exp_f32_e32 v5, v5                                       // 0000000052FC: 7E0A4105
	v_exp_f32_e32 v6, v6                                       // 000000005300: 7E0C4106
	v_exp_f32_e32 v7, v7                                       // 000000005304: 7E0E4107
	v_add_f32_e64 v4, v4, 1.0                                  // 000000005308: D1010004 0001E504
	v_add_f32_e64 v5, v5, 1.0                                  // 000000005310: D1010005 0001E505
	v_add_f32_e64 v6, v6, 1.0                                  // 000000005318: D1010006 0001E506
	v_add_f32_e64 v7, v7, 1.0                                  // 000000005320: D1010007 0001E507
	v_rcp_f32_e32 v4, v4                                       // 000000005328: 7E084504
	v_rcp_f32_e32 v5, v5                                       // 00000000532C: 7E0A4505
	v_rcp_f32_e32 v6, v6                                       // 000000005330: 7E0C4506
	v_rcp_f32_e32 v7, v7                                       // 000000005334: 7E0E4507
	v_mul_f32_e32 v100, v100, v4                               // 000000005338: 0AC80964
	v_mul_f32_e32 v101, v101, v5                               // 00000000533C: 0ACA0B65
	v_mul_f32_e32 v102, v102, v6                               // 000000005340: 0ACC0D66
	v_mul_f32_e32 v103, v103, v7                               // 000000005344: 0ACE0F67
	v_mul_f32_e32 v100, v100, v164                             // 000000005348: 0AC94964
	v_mul_f32_e32 v101, v101, v165                             // 00000000534C: 0ACB4B65
	v_mul_f32_e32 v102, v102, v166                             // 000000005350: 0ACD4D66
	v_mul_f32_e32 v103, v103, v167                             // 000000005354: 0ACF4F67
	v_pk_mul_f32 v[4:5], v[104:105], v[104:105]                // 000000005358: D3B14004 1802D168
	v_pk_mul_f32 v[6:7], v[106:107], v[106:107]                // 000000005360: D3B14006 1802D56A
	v_pk_fma_f32 v[4:5], v[4:5], s[78:79], v[8:9]              // 000000005368: D3B04004 1C209D04
	v_pk_fma_f32 v[6:7], v[6:7], s[78:79], v[8:9]              // 000000005370: D3B04006 1C209D06
	v_pk_mul_f32 v[4:5], v[4:5], v[104:105]                    // 000000005378: D3B14004 1802D104
	v_pk_mul_f32 v[6:7], v[6:7], v[106:107]                    // 000000005380: D3B14006 1802D506
	v_pk_mul_f32 v[4:5], v[4:5], s[60:61]                      // 000000005388: D3B14004 18007904
	v_pk_mul_f32 v[6:7], v[6:7], s[60:61]                      // 000000005390: D3B14006 18007906
	v_exp_f32_e32 v4, v4                                       // 000000005398: 7E084104
	v_exp_f32_e32 v5, v5                                       // 00000000539C: 7E0A4105
	v_exp_f32_e32 v6, v6                                       // 0000000053A0: 7E0C4106
	v_exp_f32_e32 v7, v7                                       // 0000000053A4: 7E0E4107
	v_add_f32_e64 v4, v4, 1.0                                  // 0000000053A8: D1010004 0001E504
	v_add_f32_e64 v5, v5, 1.0                                  // 0000000053B0: D1010005 0001E505
	v_add_f32_e64 v6, v6, 1.0                                  // 0000000053B8: D1010006 0001E506
	v_add_f32_e64 v7, v7, 1.0                                  // 0000000053C0: D1010007 0001E507
	v_rcp_f32_e32 v4, v4                                       // 0000000053C8: 7E084504
	v_rcp_f32_e32 v5, v5                                       // 0000000053CC: 7E0A4505
	v_rcp_f32_e32 v6, v6                                       // 0000000053D0: 7E0C4506
	v_rcp_f32_e32 v7, v7                                       // 0000000053D4: 7E0E4507
	v_mul_f32_e32 v104, v104, v4                               // 0000000053D8: 0AD00968
	v_mul_f32_e32 v105, v105, v5                               // 0000000053DC: 0AD20B69
	v_mul_f32_e32 v106, v106, v6                               // 0000000053E0: 0AD40D6A
	v_mul_f32_e32 v107, v107, v7                               // 0000000053E4: 0AD60F6B
	v_mul_f32_e32 v104, v104, v168                             // 0000000053E8: 0AD15168
	v_mul_f32_e32 v105, v105, v169                             // 0000000053EC: 0AD35369
	v_mul_f32_e32 v106, v106, v170                             // 0000000053F0: 0AD5556A
	v_mul_f32_e32 v107, v107, v171                             // 0000000053F4: 0AD7576B
	v_pk_mul_f32 v[4:5], v[108:109], v[108:109]                // 0000000053F8: D3B14004 1802D96C
	v_pk_mul_f32 v[6:7], v[110:111], v[110:111]                // 000000005400: D3B14006 1802DD6E
	v_pk_fma_f32 v[4:5], v[4:5], s[78:79], v[8:9]              // 000000005408: D3B04004 1C209D04
	v_pk_fma_f32 v[6:7], v[6:7], s[78:79], v[8:9]              // 000000005410: D3B04006 1C209D06
	v_pk_mul_f32 v[4:5], v[4:5], v[108:109]                    // 000000005418: D3B14004 1802D904
	v_pk_mul_f32 v[6:7], v[6:7], v[110:111]                    // 000000005420: D3B14006 1802DD06
	v_pk_mul_f32 v[4:5], v[4:5], s[60:61]                      // 000000005428: D3B14004 18007904
	v_pk_mul_f32 v[6:7], v[6:7], s[60:61]                      // 000000005430: D3B14006 18007906
	v_exp_f32_e32 v4, v4                                       // 000000005438: 7E084104
	v_exp_f32_e32 v5, v5                                       // 00000000543C: 7E0A4105
	v_exp_f32_e32 v6, v6                                       // 000000005440: 7E0C4106
	v_exp_f32_e32 v7, v7                                       // 000000005444: 7E0E4107
	v_add_f32_e64 v4, v4, 1.0                                  // 000000005448: D1010004 0001E504
	v_add_f32_e64 v5, v5, 1.0                                  // 000000005450: D1010005 0001E505
	v_add_f32_e64 v6, v6, 1.0                                  // 000000005458: D1010006 0001E506
	v_add_f32_e64 v7, v7, 1.0                                  // 000000005460: D1010007 0001E507
	v_rcp_f32_e32 v4, v4                                       // 000000005468: 7E084504
	v_rcp_f32_e32 v5, v5                                       // 00000000546C: 7E0A4505
	v_rcp_f32_e32 v6, v6                                       // 000000005470: 7E0C4506
	v_rcp_f32_e32 v7, v7                                       // 000000005474: 7E0E4507
	v_mul_f32_e32 v108, v108, v4                               // 000000005478: 0AD8096C
	v_mul_f32_e32 v109, v109, v5                               // 00000000547C: 0ADA0B6D
	v_mul_f32_e32 v110, v110, v6                               // 000000005480: 0ADC0D6E
	v_mul_f32_e32 v111, v111, v7                               // 000000005484: 0ADE0F6F
	v_mul_f32_e32 v108, v108, v172                             // 000000005488: 0AD9596C
	v_mul_f32_e32 v109, v109, v173                             // 00000000548C: 0ADB5B6D
	v_mul_f32_e32 v110, v110, v174                             // 000000005490: 0ADD5D6E
	v_mul_f32_e32 v111, v111, v175                             // 000000005494: 0ADF5F6F
	v_pk_mul_f32 v[4:5], v[112:113], v[112:113]                // 000000005498: D3B14004 1802E170
	v_pk_mul_f32 v[6:7], v[114:115], v[114:115]                // 0000000054A0: D3B14006 1802E572
	v_pk_fma_f32 v[4:5], v[4:5], s[78:79], v[8:9]              // 0000000054A8: D3B04004 1C209D04
	v_pk_fma_f32 v[6:7], v[6:7], s[78:79], v[8:9]              // 0000000054B0: D3B04006 1C209D06
	v_pk_mul_f32 v[4:5], v[4:5], v[112:113]                    // 0000000054B8: D3B14004 1802E104
	v_pk_mul_f32 v[6:7], v[6:7], v[114:115]                    // 0000000054C0: D3B14006 1802E506
	v_pk_mul_f32 v[4:5], v[4:5], s[60:61]                      // 0000000054C8: D3B14004 18007904
	v_pk_mul_f32 v[6:7], v[6:7], s[60:61]                      // 0000000054D0: D3B14006 18007906
	v_exp_f32_e32 v4, v4                                       // 0000000054D8: 7E084104
	v_exp_f32_e32 v5, v5                                       // 0000000054DC: 7E0A4105
	v_exp_f32_e32 v6, v6                                       // 0000000054E0: 7E0C4106
	v_exp_f32_e32 v7, v7                                       // 0000000054E4: 7E0E4107
	v_add_f32_e64 v4, v4, 1.0                                  // 0000000054E8: D1010004 0001E504
	v_add_f32_e64 v5, v5, 1.0                                  // 0000000054F0: D1010005 0001E505
	v_add_f32_e64 v6, v6, 1.0                                  // 0000000054F8: D1010006 0001E506
	v_add_f32_e64 v7, v7, 1.0                                  // 000000005500: D1010007 0001E507
	v_rcp_f32_e32 v4, v4                                       // 000000005508: 7E084504
	v_rcp_f32_e32 v5, v5                                       // 00000000550C: 7E0A4505
	v_rcp_f32_e32 v6, v6                                       // 000000005510: 7E0C4506
	v_rcp_f32_e32 v7, v7                                       // 000000005514: 7E0E4507
	v_mul_f32_e32 v112, v112, v4                               // 000000005518: 0AE00970
	v_mul_f32_e32 v113, v113, v5                               // 00000000551C: 0AE20B71
	v_mul_f32_e32 v114, v114, v6                               // 000000005520: 0AE40D72
	v_mul_f32_e32 v115, v115, v7                               // 000000005524: 0AE60F73
	v_mul_f32_e32 v112, v112, v176                             // 000000005528: 0AE16170
	v_mul_f32_e32 v113, v113, v177                             // 00000000552C: 0AE36371
	v_mul_f32_e32 v114, v114, v178                             // 000000005530: 0AE56572
	v_mul_f32_e32 v115, v115, v179                             // 000000005534: 0AE76773
	v_pk_mul_f32 v[4:5], v[116:117], v[116:117]                // 000000005538: D3B14004 1802E974
	v_pk_mul_f32 v[6:7], v[118:119], v[118:119]                // 000000005540: D3B14006 1802ED76
	v_pk_fma_f32 v[4:5], v[4:5], s[78:79], v[8:9]              // 000000005548: D3B04004 1C209D04
	v_pk_fma_f32 v[6:7], v[6:7], s[78:79], v[8:9]              // 000000005550: D3B04006 1C209D06
	v_pk_mul_f32 v[4:5], v[4:5], v[116:117]                    // 000000005558: D3B14004 1802E904
	v_pk_mul_f32 v[6:7], v[6:7], v[118:119]                    // 000000005560: D3B14006 1802ED06
	v_pk_mul_f32 v[4:5], v[4:5], s[60:61]                      // 000000005568: D3B14004 18007904
	v_pk_mul_f32 v[6:7], v[6:7], s[60:61]                      // 000000005570: D3B14006 18007906
	v_exp_f32_e32 v4, v4                                       // 000000005578: 7E084104
	v_exp_f32_e32 v5, v5                                       // 00000000557C: 7E0A4105
	v_exp_f32_e32 v6, v6                                       // 000000005580: 7E0C4106
	v_exp_f32_e32 v7, v7                                       // 000000005584: 7E0E4107
	v_add_f32_e64 v4, v4, 1.0                                  // 000000005588: D1010004 0001E504
	v_add_f32_e64 v5, v5, 1.0                                  // 000000005590: D1010005 0001E505
	v_add_f32_e64 v6, v6, 1.0                                  // 000000005598: D1010006 0001E506
	v_add_f32_e64 v7, v7, 1.0                                  // 0000000055A0: D1010007 0001E507
	v_rcp_f32_e32 v4, v4                                       // 0000000055A8: 7E084504
	v_rcp_f32_e32 v5, v5                                       // 0000000055AC: 7E0A4505
	v_rcp_f32_e32 v6, v6                                       // 0000000055B0: 7E0C4506
	v_rcp_f32_e32 v7, v7                                       // 0000000055B4: 7E0E4507
	v_mul_f32_e32 v116, v116, v4                               // 0000000055B8: 0AE80974
	v_mul_f32_e32 v117, v117, v5                               // 0000000055BC: 0AEA0B75
	v_mul_f32_e32 v118, v118, v6                               // 0000000055C0: 0AEC0D76
	v_mul_f32_e32 v119, v119, v7                               // 0000000055C4: 0AEE0F77
	v_mul_f32_e32 v116, v116, v180                             // 0000000055C8: 0AE96974
	v_mul_f32_e32 v117, v117, v181                             // 0000000055CC: 0AEB6B75
	v_mul_f32_e32 v118, v118, v182                             // 0000000055D0: 0AED6D76
	v_mul_f32_e32 v119, v119, v183                             // 0000000055D4: 0AEF6F77
	v_pk_mul_f32 v[4:5], v[120:121], v[120:121]                // 0000000055D8: D3B14004 1802F178
	v_pk_mul_f32 v[6:7], v[122:123], v[122:123]                // 0000000055E0: D3B14006 1802F57A
	v_pk_fma_f32 v[4:5], v[4:5], s[78:79], v[8:9]              // 0000000055E8: D3B04004 1C209D04
	v_pk_fma_f32 v[6:7], v[6:7], s[78:79], v[8:9]              // 0000000055F0: D3B04006 1C209D06
	v_pk_mul_f32 v[4:5], v[4:5], v[120:121]                    // 0000000055F8: D3B14004 1802F104
	v_pk_mul_f32 v[6:7], v[6:7], v[122:123]                    // 000000005600: D3B14006 1802F506
	v_pk_mul_f32 v[4:5], v[4:5], s[60:61]                      // 000000005608: D3B14004 18007904
	v_pk_mul_f32 v[6:7], v[6:7], s[60:61]                      // 000000005610: D3B14006 18007906
	v_exp_f32_e32 v4, v4                                       // 000000005618: 7E084104
	v_exp_f32_e32 v5, v5                                       // 00000000561C: 7E0A4105
	v_exp_f32_e32 v6, v6                                       // 000000005620: 7E0C4106
	v_exp_f32_e32 v7, v7                                       // 000000005624: 7E0E4107
	v_add_f32_e64 v4, v4, 1.0                                  // 000000005628: D1010004 0001E504
	v_add_f32_e64 v5, v5, 1.0                                  // 000000005630: D1010005 0001E505
	v_add_f32_e64 v6, v6, 1.0                                  // 000000005638: D1010006 0001E506
	v_add_f32_e64 v7, v7, 1.0                                  // 000000005640: D1010007 0001E507
	v_rcp_f32_e32 v4, v4                                       // 000000005648: 7E084504
	v_rcp_f32_e32 v5, v5                                       // 00000000564C: 7E0A4505
	v_rcp_f32_e32 v6, v6                                       // 000000005650: 7E0C4506
	v_rcp_f32_e32 v7, v7                                       // 000000005654: 7E0E4507
	v_mul_f32_e32 v120, v120, v4                               // 000000005658: 0AF00978
	v_mul_f32_e32 v121, v121, v5                               // 00000000565C: 0AF20B79
	v_mul_f32_e32 v122, v122, v6                               // 000000005660: 0AF40D7A
	v_mul_f32_e32 v123, v123, v7                               // 000000005664: 0AF60F7B
	v_mul_f32_e32 v120, v120, v184                             // 000000005668: 0AF17178
	v_mul_f32_e32 v121, v121, v185                             // 00000000566C: 0AF37379
	v_mul_f32_e32 v122, v122, v186                             // 000000005670: 0AF5757A
	v_mul_f32_e32 v123, v123, v187                             // 000000005674: 0AF7777B
	v_pk_mul_f32 v[4:5], v[124:125], v[124:125]                // 000000005678: D3B14004 1802F97C
	v_pk_mul_f32 v[6:7], v[126:127], v[126:127]                // 000000005680: D3B14006 1802FD7E
	v_pk_fma_f32 v[4:5], v[4:5], s[78:79], v[8:9]              // 000000005688: D3B04004 1C209D04
	v_pk_fma_f32 v[6:7], v[6:7], s[78:79], v[8:9]              // 000000005690: D3B04006 1C209D06
	v_pk_mul_f32 v[4:5], v[4:5], v[124:125]                    // 000000005698: D3B14004 1802F904
	v_pk_mul_f32 v[6:7], v[6:7], v[126:127]                    // 0000000056A0: D3B14006 1802FD06
	v_pk_mul_f32 v[4:5], v[4:5], s[60:61]                      // 0000000056A8: D3B14004 18007904
	v_pk_mul_f32 v[6:7], v[6:7], s[60:61]                      // 0000000056B0: D3B14006 18007906
	v_exp_f32_e32 v4, v4                                       // 0000000056B8: 7E084104
	v_exp_f32_e32 v5, v5                                       // 0000000056BC: 7E0A4105
	v_exp_f32_e32 v6, v6                                       // 0000000056C0: 7E0C4106
	v_exp_f32_e32 v7, v7                                       // 0000000056C4: 7E0E4107
	v_add_f32_e64 v4, v4, 1.0                                  // 0000000056C8: D1010004 0001E504
	v_add_f32_e64 v5, v5, 1.0                                  // 0000000056D0: D1010005 0001E505
	v_add_f32_e64 v6, v6, 1.0                                  // 0000000056D8: D1010006 0001E506
	v_add_f32_e64 v7, v7, 1.0                                  // 0000000056E0: D1010007 0001E507
	v_rcp_f32_e32 v4, v4                                       // 0000000056E8: 7E084504
	v_rcp_f32_e32 v5, v5                                       // 0000000056EC: 7E0A4505
	v_rcp_f32_e32 v6, v6                                       // 0000000056F0: 7E0C4506
	v_rcp_f32_e32 v7, v7                                       // 0000000056F4: 7E0E4507
	v_mul_f32_e32 v124, v124, v4                               // 0000000056F8: 0AF8097C
	v_mul_f32_e32 v125, v125, v5                               // 0000000056FC: 0AFA0B7D
	v_mul_f32_e32 v126, v126, v6                               // 000000005700: 0AFC0D7E
	v_mul_f32_e32 v127, v127, v7                               // 000000005704: 0AFE0F7F
	v_mul_f32_e32 v124, v124, v188                             // 000000005708: 0AF9797C
	v_mul_f32_e32 v125, v125, v189                             // 00000000570C: 0AFB7B7D
	v_mul_f32_e32 v126, v126, v190                             // 000000005710: 0AFD7D7E
	v_mul_f32_e32 v127, v127, v191                             // 000000005714: 0AFF7F7F
	v_pk_mul_f32 v[4:5], v[128:129], v[128:129]                // 000000005718: D3B14004 18030180
	v_pk_mul_f32 v[6:7], v[130:131], v[130:131]                // 000000005720: D3B14006 18030582
	v_pk_fma_f32 v[4:5], v[4:5], s[78:79], v[8:9]              // 000000005728: D3B04004 1C209D04
	v_pk_fma_f32 v[6:7], v[6:7], s[78:79], v[8:9]              // 000000005730: D3B04006 1C209D06
	v_pk_mul_f32 v[4:5], v[4:5], v[128:129]                    // 000000005738: D3B14004 18030104
	v_pk_mul_f32 v[6:7], v[6:7], v[130:131]                    // 000000005740: D3B14006 18030506
	v_pk_mul_f32 v[4:5], v[4:5], s[60:61]                      // 000000005748: D3B14004 18007904
	v_pk_mul_f32 v[6:7], v[6:7], s[60:61]                      // 000000005750: D3B14006 18007906
	v_exp_f32_e32 v4, v4                                       // 000000005758: 7E084104
	v_exp_f32_e32 v5, v5                                       // 00000000575C: 7E0A4105
	v_exp_f32_e32 v6, v6                                       // 000000005760: 7E0C4106
	v_exp_f32_e32 v7, v7                                       // 000000005764: 7E0E4107
	v_add_f32_e64 v4, v4, 1.0                                  // 000000005768: D1010004 0001E504
	v_add_f32_e64 v5, v5, 1.0                                  // 000000005770: D1010005 0001E505
	v_add_f32_e64 v6, v6, 1.0                                  // 000000005778: D1010006 0001E506
	v_add_f32_e64 v7, v7, 1.0                                  // 000000005780: D1010007 0001E507
	v_rcp_f32_e32 v4, v4                                       // 000000005788: 7E084504
	v_rcp_f32_e32 v5, v5                                       // 00000000578C: 7E0A4505
	v_rcp_f32_e32 v6, v6                                       // 000000005790: 7E0C4506
	v_rcp_f32_e32 v7, v7                                       // 000000005794: 7E0E4507
	v_mul_f32_e32 v128, v128, v4                               // 000000005798: 0B000980
	v_mul_f32_e32 v129, v129, v5                               // 00000000579C: 0B020B81
	v_mul_f32_e32 v130, v130, v6                               // 0000000057A0: 0B040D82
	v_mul_f32_e32 v131, v131, v7                               // 0000000057A4: 0B060F83
	v_mul_f32_e32 v128, v128, v192                             // 0000000057A8: 0B018180
	v_mul_f32_e32 v129, v129, v193                             // 0000000057AC: 0B038381
	v_mul_f32_e32 v130, v130, v194                             // 0000000057B0: 0B058582
	v_mul_f32_e32 v131, v131, v195                             // 0000000057B4: 0B078783
	v_pk_mul_f32 v[4:5], v[132:133], v[132:133]                // 0000000057B8: D3B14004 18030984
	v_pk_mul_f32 v[6:7], v[134:135], v[134:135]                // 0000000057C0: D3B14006 18030D86
	v_pk_fma_f32 v[4:5], v[4:5], s[78:79], v[8:9]              // 0000000057C8: D3B04004 1C209D04
	v_pk_fma_f32 v[6:7], v[6:7], s[78:79], v[8:9]              // 0000000057D0: D3B04006 1C209D06
	v_pk_mul_f32 v[4:5], v[4:5], v[132:133]                    // 0000000057D8: D3B14004 18030904
	v_pk_mul_f32 v[6:7], v[6:7], v[134:135]                    // 0000000057E0: D3B14006 18030D06
	v_pk_mul_f32 v[4:5], v[4:5], s[60:61]                      // 0000000057E8: D3B14004 18007904
	v_pk_mul_f32 v[6:7], v[6:7], s[60:61]                      // 0000000057F0: D3B14006 18007906
	v_exp_f32_e32 v4, v4                                       // 0000000057F8: 7E084104
	v_exp_f32_e32 v5, v5                                       // 0000000057FC: 7E0A4105
	v_exp_f32_e32 v6, v6                                       // 000000005800: 7E0C4106
	v_exp_f32_e32 v7, v7                                       // 000000005804: 7E0E4107
	v_add_f32_e64 v4, v4, 1.0                                  // 000000005808: D1010004 0001E504
	v_add_f32_e64 v5, v5, 1.0                                  // 000000005810: D1010005 0001E505
	v_add_f32_e64 v6, v6, 1.0                                  // 000000005818: D1010006 0001E506
	v_add_f32_e64 v7, v7, 1.0                                  // 000000005820: D1010007 0001E507
	v_rcp_f32_e32 v4, v4                                       // 000000005828: 7E084504
	v_rcp_f32_e32 v5, v5                                       // 00000000582C: 7E0A4505
	v_rcp_f32_e32 v6, v6                                       // 000000005830: 7E0C4506
	v_rcp_f32_e32 v7, v7                                       // 000000005834: 7E0E4507
	v_mul_f32_e32 v132, v132, v4                               // 000000005838: 0B080984
	v_mul_f32_e32 v133, v133, v5                               // 00000000583C: 0B0A0B85
	v_mul_f32_e32 v134, v134, v6                               // 000000005840: 0B0C0D86
	v_mul_f32_e32 v135, v135, v7                               // 000000005844: 0B0E0F87
	v_mul_f32_e32 v132, v132, v196                             // 000000005848: 0B098984
	v_mul_f32_e32 v133, v133, v197                             // 00000000584C: 0B0B8B85
	v_mul_f32_e32 v134, v134, v198                             // 000000005850: 0B0D8D86
	v_mul_f32_e32 v135, v135, v199                             // 000000005854: 0B0F8F87
	v_pk_mul_f32 v[4:5], v[136:137], v[136:137]                // 000000005858: D3B14004 18031188
	v_pk_mul_f32 v[6:7], v[138:139], v[138:139]                // 000000005860: D3B14006 1803158A
	v_pk_fma_f32 v[4:5], v[4:5], s[78:79], v[8:9]              // 000000005868: D3B04004 1C209D04
	v_pk_fma_f32 v[6:7], v[6:7], s[78:79], v[8:9]              // 000000005870: D3B04006 1C209D06
	v_pk_mul_f32 v[4:5], v[4:5], v[136:137]                    // 000000005878: D3B14004 18031104
	v_pk_mul_f32 v[6:7], v[6:7], v[138:139]                    // 000000005880: D3B14006 18031506
	v_pk_mul_f32 v[4:5], v[4:5], s[60:61]                      // 000000005888: D3B14004 18007904
	v_pk_mul_f32 v[6:7], v[6:7], s[60:61]                      // 000000005890: D3B14006 18007906
	v_exp_f32_e32 v4, v4                                       // 000000005898: 7E084104
	v_exp_f32_e32 v5, v5                                       // 00000000589C: 7E0A4105
	v_exp_f32_e32 v6, v6                                       // 0000000058A0: 7E0C4106
	v_exp_f32_e32 v7, v7                                       // 0000000058A4: 7E0E4107
	v_add_f32_e64 v4, v4, 1.0                                  // 0000000058A8: D1010004 0001E504
	v_add_f32_e64 v5, v5, 1.0                                  // 0000000058B0: D1010005 0001E505
	v_add_f32_e64 v6, v6, 1.0                                  // 0000000058B8: D1010006 0001E506
	v_add_f32_e64 v7, v7, 1.0                                  // 0000000058C0: D1010007 0001E507
	v_rcp_f32_e32 v4, v4                                       // 0000000058C8: 7E084504
	v_rcp_f32_e32 v5, v5                                       // 0000000058CC: 7E0A4505
	v_rcp_f32_e32 v6, v6                                       // 0000000058D0: 7E0C4506
	v_rcp_f32_e32 v7, v7                                       // 0000000058D4: 7E0E4507
	v_mul_f32_e32 v136, v136, v4                               // 0000000058D8: 0B100988
	v_mul_f32_e32 v137, v137, v5                               // 0000000058DC: 0B120B89
	v_mul_f32_e32 v138, v138, v6                               // 0000000058E0: 0B140D8A
	v_mul_f32_e32 v139, v139, v7                               // 0000000058E4: 0B160F8B
	v_mul_f32_e32 v136, v136, v200                             // 0000000058E8: 0B119188
	v_mul_f32_e32 v137, v137, v201                             // 0000000058EC: 0B139389
	v_mul_f32_e32 v138, v138, v202                             // 0000000058F0: 0B15958A
	v_mul_f32_e32 v139, v139, v203                             // 0000000058F4: 0B17978B
	v_pk_mul_f32 v[4:5], v[140:141], v[140:141]                // 0000000058F8: D3B14004 1803198C
	v_pk_mul_f32 v[6:7], v[142:143], v[142:143]                // 000000005900: D3B14006 18031D8E
	v_pk_fma_f32 v[4:5], v[4:5], s[78:79], v[8:9]              // 000000005908: D3B04004 1C209D04
	v_pk_fma_f32 v[6:7], v[6:7], s[78:79], v[8:9]              // 000000005910: D3B04006 1C209D06
	v_pk_mul_f32 v[4:5], v[4:5], v[140:141]                    // 000000005918: D3B14004 18031904
	v_pk_mul_f32 v[6:7], v[6:7], v[142:143]                    // 000000005920: D3B14006 18031D06
	v_pk_mul_f32 v[4:5], v[4:5], s[60:61]                      // 000000005928: D3B14004 18007904
	v_pk_mul_f32 v[6:7], v[6:7], s[60:61]                      // 000000005930: D3B14006 18007906
	v_exp_f32_e32 v4, v4                                       // 000000005938: 7E084104
	v_exp_f32_e32 v5, v5                                       // 00000000593C: 7E0A4105
	v_exp_f32_e32 v6, v6                                       // 000000005940: 7E0C4106
	v_exp_f32_e32 v7, v7                                       // 000000005944: 7E0E4107
	v_add_f32_e64 v4, v4, 1.0                                  // 000000005948: D1010004 0001E504
	v_add_f32_e64 v5, v5, 1.0                                  // 000000005950: D1010005 0001E505
	v_add_f32_e64 v6, v6, 1.0                                  // 000000005958: D1010006 0001E506
	v_add_f32_e64 v7, v7, 1.0                                  // 000000005960: D1010007 0001E507
	v_rcp_f32_e32 v4, v4                                       // 000000005968: 7E084504
	v_rcp_f32_e32 v5, v5                                       // 00000000596C: 7E0A4505
	v_rcp_f32_e32 v6, v6                                       // 000000005970: 7E0C4506
	v_rcp_f32_e32 v7, v7                                       // 000000005974: 7E0E4507
	v_mul_f32_e32 v140, v140, v4                               // 000000005978: 0B18098C
	v_mul_f32_e32 v141, v141, v5                               // 00000000597C: 0B1A0B8D
	v_mul_f32_e32 v142, v142, v6                               // 000000005980: 0B1C0D8E
	v_mul_f32_e32 v143, v143, v7                               // 000000005984: 0B1E0F8F
	v_mul_f32_e32 v140, v140, v204                             // 000000005988: 0B19998C
	v_mul_f32_e32 v141, v141, v205                             // 00000000598C: 0B1B9B8D
	v_mul_f32_e32 v142, v142, v206                             // 000000005990: 0B1D9D8E
	v_mul_f32_e32 v143, v143, v207                             // 000000005994: 0B1F9F8F
	s_branch label_0DE7                                        // 000000005998: BF820200

000000000000599c <label_0BE7>:
	v_mul_f32_e64 v4, -v80, s6                                 // 00000000599C: D1050004 20000D50
	v_mul_f32_e64 v5, -v81, s6                                 // 0000000059A4: D1050005 20000D51
	v_mul_f32_e64 v6, -v82, s6                                 // 0000000059AC: D1050006 20000D52
	v_mul_f32_e64 v7, -v83, s6                                 // 0000000059B4: D1050007 20000D53
	v_exp_f32_e32 v4, v4                                       // 0000000059BC: 7E084104
	v_exp_f32_e32 v5, v5                                       // 0000000059C0: 7E0A4105
	v_exp_f32_e32 v6, v6                                       // 0000000059C4: 7E0C4106
	v_exp_f32_e32 v7, v7                                       // 0000000059C8: 7E0E4107
	v_add_f32_e64 v4, v4, 1.0                                  // 0000000059CC: D1010004 0001E504
	v_add_f32_e64 v5, v5, 1.0                                  // 0000000059D4: D1010005 0001E505
	v_add_f32_e64 v6, v6, 1.0                                  // 0000000059DC: D1010006 0001E506
	v_add_f32_e64 v7, v7, 1.0                                  // 0000000059E4: D1010007 0001E507
	v_rcp_f32_e32 v4, v4                                       // 0000000059EC: 7E084504
	v_rcp_f32_e32 v5, v5                                       // 0000000059F0: 7E0A4505
	v_rcp_f32_e32 v6, v6                                       // 0000000059F4: 7E0C4506
	v_rcp_f32_e32 v7, v7                                       // 0000000059F8: 7E0E4507
	v_mul_f32_e32 v80, v80, v4                                 // 0000000059FC: 0AA00950
	v_mul_f32_e32 v81, v81, v5                                 // 000000005A00: 0AA20B51
	v_mul_f32_e32 v82, v82, v6                                 // 000000005A04: 0AA40D52
	v_mul_f32_e32 v83, v83, v7                                 // 000000005A08: 0AA60F53
	v_mul_f32_e32 v80, v80, v144                               // 000000005A0C: 0AA12150
	v_mul_f32_e32 v81, v81, v145                               // 000000005A10: 0AA32351
	v_mul_f32_e32 v82, v82, v146                               // 000000005A14: 0AA52552
	v_mul_f32_e32 v83, v83, v147                               // 000000005A18: 0AA72753
	v_mul_f32_e64 v4, -v84, s6                                 // 000000005A1C: D1050004 20000D54
	v_mul_f32_e64 v5, -v85, s6                                 // 000000005A24: D1050005 20000D55
	v_mul_f32_e64 v6, -v86, s6                                 // 000000005A2C: D1050006 20000D56
	v_mul_f32_e64 v7, -v87, s6                                 // 000000005A34: D1050007 20000D57
	v_exp_f32_e32 v4, v4                                       // 000000005A3C: 7E084104
	v_exp_f32_e32 v5, v5                                       // 000000005A40: 7E0A4105
	v_exp_f32_e32 v6, v6                                       // 000000005A44: 7E0C4106
	v_exp_f32_e32 v7, v7                                       // 000000005A48: 7E0E4107
	v_add_f32_e64 v4, v4, 1.0                                  // 000000005A4C: D1010004 0001E504
	v_add_f32_e64 v5, v5, 1.0                                  // 000000005A54: D1010005 0001E505
	v_add_f32_e64 v6, v6, 1.0                                  // 000000005A5C: D1010006 0001E506
	v_add_f32_e64 v7, v7, 1.0                                  // 000000005A64: D1010007 0001E507
	v_rcp_f32_e32 v4, v4                                       // 000000005A6C: 7E084504
	v_rcp_f32_e32 v5, v5                                       // 000000005A70: 7E0A4505
	v_rcp_f32_e32 v6, v6                                       // 000000005A74: 7E0C4506
	v_rcp_f32_e32 v7, v7                                       // 000000005A78: 7E0E4507
	v_mul_f32_e32 v84, v84, v4                                 // 000000005A7C: 0AA80954
	v_mul_f32_e32 v85, v85, v5                                 // 000000005A80: 0AAA0B55
	v_mul_f32_e32 v86, v86, v6                                 // 000000005A84: 0AAC0D56
	v_mul_f32_e32 v87, v87, v7                                 // 000000005A88: 0AAE0F57
	v_mul_f32_e32 v84, v84, v148                               // 000000005A8C: 0AA92954
	v_mul_f32_e32 v85, v85, v149                               // 000000005A90: 0AAB2B55
	v_mul_f32_e32 v86, v86, v150                               // 000000005A94: 0AAD2D56
	v_mul_f32_e32 v87, v87, v151                               // 000000005A98: 0AAF2F57
	v_mul_f32_e64 v4, -v88, s6                                 // 000000005A9C: D1050004 20000D58
	v_mul_f32_e64 v5, -v89, s6                                 // 000000005AA4: D1050005 20000D59
	v_mul_f32_e64 v6, -v90, s6                                 // 000000005AAC: D1050006 20000D5A
	v_mul_f32_e64 v7, -v91, s6                                 // 000000005AB4: D1050007 20000D5B
	v_exp_f32_e32 v4, v4                                       // 000000005ABC: 7E084104
	v_exp_f32_e32 v5, v5                                       // 000000005AC0: 7E0A4105
	v_exp_f32_e32 v6, v6                                       // 000000005AC4: 7E0C4106
	v_exp_f32_e32 v7, v7                                       // 000000005AC8: 7E0E4107
	v_add_f32_e64 v4, v4, 1.0                                  // 000000005ACC: D1010004 0001E504
	v_add_f32_e64 v5, v5, 1.0                                  // 000000005AD4: D1010005 0001E505
	v_add_f32_e64 v6, v6, 1.0                                  // 000000005ADC: D1010006 0001E506
	v_add_f32_e64 v7, v7, 1.0                                  // 000000005AE4: D1010007 0001E507
	v_rcp_f32_e32 v4, v4                                       // 000000005AEC: 7E084504
	v_rcp_f32_e32 v5, v5                                       // 000000005AF0: 7E0A4505
	v_rcp_f32_e32 v6, v6                                       // 000000005AF4: 7E0C4506
	v_rcp_f32_e32 v7, v7                                       // 000000005AF8: 7E0E4507
	v_mul_f32_e32 v88, v88, v4                                 // 000000005AFC: 0AB00958
	v_mul_f32_e32 v89, v89, v5                                 // 000000005B00: 0AB20B59
	v_mul_f32_e32 v90, v90, v6                                 // 000000005B04: 0AB40D5A
	v_mul_f32_e32 v91, v91, v7                                 // 000000005B08: 0AB60F5B
	v_mul_f32_e32 v88, v88, v152                               // 000000005B0C: 0AB13158
	v_mul_f32_e32 v89, v89, v153                               // 000000005B10: 0AB33359
	v_mul_f32_e32 v90, v90, v154                               // 000000005B14: 0AB5355A
	v_mul_f32_e32 v91, v91, v155                               // 000000005B18: 0AB7375B
	v_mul_f32_e64 v4, -v92, s6                                 // 000000005B1C: D1050004 20000D5C
	v_mul_f32_e64 v5, -v93, s6                                 // 000000005B24: D1050005 20000D5D
	v_mul_f32_e64 v6, -v94, s6                                 // 000000005B2C: D1050006 20000D5E
	v_mul_f32_e64 v7, -v95, s6                                 // 000000005B34: D1050007 20000D5F
	v_exp_f32_e32 v4, v4                                       // 000000005B3C: 7E084104
	v_exp_f32_e32 v5, v5                                       // 000000005B40: 7E0A4105
	v_exp_f32_e32 v6, v6                                       // 000000005B44: 7E0C4106
	v_exp_f32_e32 v7, v7                                       // 000000005B48: 7E0E4107
	v_add_f32_e64 v4, v4, 1.0                                  // 000000005B4C: D1010004 0001E504
	v_add_f32_e64 v5, v5, 1.0                                  // 000000005B54: D1010005 0001E505
	v_add_f32_e64 v6, v6, 1.0                                  // 000000005B5C: D1010006 0001E506
	v_add_f32_e64 v7, v7, 1.0                                  // 000000005B64: D1010007 0001E507
	v_rcp_f32_e32 v4, v4                                       // 000000005B6C: 7E084504
	v_rcp_f32_e32 v5, v5                                       // 000000005B70: 7E0A4505
	v_rcp_f32_e32 v6, v6                                       // 000000005B74: 7E0C4506
	v_rcp_f32_e32 v7, v7                                       // 000000005B78: 7E0E4507
	v_mul_f32_e32 v92, v92, v4                                 // 000000005B7C: 0AB8095C
	v_mul_f32_e32 v93, v93, v5                                 // 000000005B80: 0ABA0B5D
	v_mul_f32_e32 v94, v94, v6                                 // 000000005B84: 0ABC0D5E
	v_mul_f32_e32 v95, v95, v7                                 // 000000005B88: 0ABE0F5F
	v_mul_f32_e32 v92, v92, v156                               // 000000005B8C: 0AB9395C
	v_mul_f32_e32 v93, v93, v157                               // 000000005B90: 0ABB3B5D
	v_mul_f32_e32 v94, v94, v158                               // 000000005B94: 0ABD3D5E
	v_mul_f32_e32 v95, v95, v159                               // 000000005B98: 0ABF3F5F
	v_mul_f32_e64 v4, -v96, s6                                 // 000000005B9C: D1050004 20000D60
	v_mul_f32_e64 v5, -v97, s6                                 // 000000005BA4: D1050005 20000D61
	v_mul_f32_e64 v6, -v98, s6                                 // 000000005BAC: D1050006 20000D62
	v_mul_f32_e64 v7, -v99, s6                                 // 000000005BB4: D1050007 20000D63
	v_exp_f32_e32 v4, v4                                       // 000000005BBC: 7E084104
	v_exp_f32_e32 v5, v5                                       // 000000005BC0: 7E0A4105
	v_exp_f32_e32 v6, v6                                       // 000000005BC4: 7E0C4106
	v_exp_f32_e32 v7, v7                                       // 000000005BC8: 7E0E4107
	v_add_f32_e64 v4, v4, 1.0                                  // 000000005BCC: D1010004 0001E504
	v_add_f32_e64 v5, v5, 1.0                                  // 000000005BD4: D1010005 0001E505
	v_add_f32_e64 v6, v6, 1.0                                  // 000000005BDC: D1010006 0001E506
	v_add_f32_e64 v7, v7, 1.0                                  // 000000005BE4: D1010007 0001E507
	v_rcp_f32_e32 v4, v4                                       // 000000005BEC: 7E084504
	v_rcp_f32_e32 v5, v5                                       // 000000005BF0: 7E0A4505
	v_rcp_f32_e32 v6, v6                                       // 000000005BF4: 7E0C4506
	v_rcp_f32_e32 v7, v7                                       // 000000005BF8: 7E0E4507
	v_mul_f32_e32 v96, v96, v4                                 // 000000005BFC: 0AC00960
	v_mul_f32_e32 v97, v97, v5                                 // 000000005C00: 0AC20B61
	v_mul_f32_e32 v98, v98, v6                                 // 000000005C04: 0AC40D62
	v_mul_f32_e32 v99, v99, v7                                 // 000000005C08: 0AC60F63
	v_mul_f32_e32 v96, v96, v160                               // 000000005C0C: 0AC14160
	v_mul_f32_e32 v97, v97, v161                               // 000000005C10: 0AC34361
	v_mul_f32_e32 v98, v98, v162                               // 000000005C14: 0AC54562
	v_mul_f32_e32 v99, v99, v163                               // 000000005C18: 0AC74763
	v_mul_f32_e64 v4, -v100, s6                                // 000000005C1C: D1050004 20000D64
	v_mul_f32_e64 v5, -v101, s6                                // 000000005C24: D1050005 20000D65
	v_mul_f32_e64 v6, -v102, s6                                // 000000005C2C: D1050006 20000D66
	v_mul_f32_e64 v7, -v103, s6                                // 000000005C34: D1050007 20000D67
	v_exp_f32_e32 v4, v4                                       // 000000005C3C: 7E084104
	v_exp_f32_e32 v5, v5                                       // 000000005C40: 7E0A4105
	v_exp_f32_e32 v6, v6                                       // 000000005C44: 7E0C4106
	v_exp_f32_e32 v7, v7                                       // 000000005C48: 7E0E4107
	v_add_f32_e64 v4, v4, 1.0                                  // 000000005C4C: D1010004 0001E504
	v_add_f32_e64 v5, v5, 1.0                                  // 000000005C54: D1010005 0001E505
	v_add_f32_e64 v6, v6, 1.0                                  // 000000005C5C: D1010006 0001E506
	v_add_f32_e64 v7, v7, 1.0                                  // 000000005C64: D1010007 0001E507
	v_rcp_f32_e32 v4, v4                                       // 000000005C6C: 7E084504
	v_rcp_f32_e32 v5, v5                                       // 000000005C70: 7E0A4505
	v_rcp_f32_e32 v6, v6                                       // 000000005C74: 7E0C4506
	v_rcp_f32_e32 v7, v7                                       // 000000005C78: 7E0E4507
	v_mul_f32_e32 v100, v100, v4                               // 000000005C7C: 0AC80964
	v_mul_f32_e32 v101, v101, v5                               // 000000005C80: 0ACA0B65
	v_mul_f32_e32 v102, v102, v6                               // 000000005C84: 0ACC0D66
	v_mul_f32_e32 v103, v103, v7                               // 000000005C88: 0ACE0F67
	v_mul_f32_e32 v100, v100, v164                             // 000000005C8C: 0AC94964
	v_mul_f32_e32 v101, v101, v165                             // 000000005C90: 0ACB4B65
	v_mul_f32_e32 v102, v102, v166                             // 000000005C94: 0ACD4D66
	v_mul_f32_e32 v103, v103, v167                             // 000000005C98: 0ACF4F67
	v_mul_f32_e64 v4, -v104, s6                                // 000000005C9C: D1050004 20000D68
	v_mul_f32_e64 v5, -v105, s6                                // 000000005CA4: D1050005 20000D69
	v_mul_f32_e64 v6, -v106, s6                                // 000000005CAC: D1050006 20000D6A
	v_mul_f32_e64 v7, -v107, s6                                // 000000005CB4: D1050007 20000D6B
	v_exp_f32_e32 v4, v4                                       // 000000005CBC: 7E084104
	v_exp_f32_e32 v5, v5                                       // 000000005CC0: 7E0A4105
	v_exp_f32_e32 v6, v6                                       // 000000005CC4: 7E0C4106
	v_exp_f32_e32 v7, v7                                       // 000000005CC8: 7E0E4107
	v_add_f32_e64 v4, v4, 1.0                                  // 000000005CCC: D1010004 0001E504
	v_add_f32_e64 v5, v5, 1.0                                  // 000000005CD4: D1010005 0001E505
	v_add_f32_e64 v6, v6, 1.0                                  // 000000005CDC: D1010006 0001E506
	v_add_f32_e64 v7, v7, 1.0                                  // 000000005CE4: D1010007 0001E507
	v_rcp_f32_e32 v4, v4                                       // 000000005CEC: 7E084504
	v_rcp_f32_e32 v5, v5                                       // 000000005CF0: 7E0A4505
	v_rcp_f32_e32 v6, v6                                       // 000000005CF4: 7E0C4506
	v_rcp_f32_e32 v7, v7                                       // 000000005CF8: 7E0E4507
	v_mul_f32_e32 v104, v104, v4                               // 000000005CFC: 0AD00968
	v_mul_f32_e32 v105, v105, v5                               // 000000005D00: 0AD20B69
	v_mul_f32_e32 v106, v106, v6                               // 000000005D04: 0AD40D6A
	v_mul_f32_e32 v107, v107, v7                               // 000000005D08: 0AD60F6B
	v_mul_f32_e32 v104, v104, v168                             // 000000005D0C: 0AD15168
	v_mul_f32_e32 v105, v105, v169                             // 000000005D10: 0AD35369
	v_mul_f32_e32 v106, v106, v170                             // 000000005D14: 0AD5556A
	v_mul_f32_e32 v107, v107, v171                             // 000000005D18: 0AD7576B
	v_mul_f32_e64 v4, -v108, s6                                // 000000005D1C: D1050004 20000D6C
	v_mul_f32_e64 v5, -v109, s6                                // 000000005D24: D1050005 20000D6D
	v_mul_f32_e64 v6, -v110, s6                                // 000000005D2C: D1050006 20000D6E
	v_mul_f32_e64 v7, -v111, s6                                // 000000005D34: D1050007 20000D6F
	v_exp_f32_e32 v4, v4                                       // 000000005D3C: 7E084104
	v_exp_f32_e32 v5, v5                                       // 000000005D40: 7E0A4105
	v_exp_f32_e32 v6, v6                                       // 000000005D44: 7E0C4106
	v_exp_f32_e32 v7, v7                                       // 000000005D48: 7E0E4107
	v_add_f32_e64 v4, v4, 1.0                                  // 000000005D4C: D1010004 0001E504
	v_add_f32_e64 v5, v5, 1.0                                  // 000000005D54: D1010005 0001E505
	v_add_f32_e64 v6, v6, 1.0                                  // 000000005D5C: D1010006 0001E506
	v_add_f32_e64 v7, v7, 1.0                                  // 000000005D64: D1010007 0001E507
	v_rcp_f32_e32 v4, v4                                       // 000000005D6C: 7E084504
	v_rcp_f32_e32 v5, v5                                       // 000000005D70: 7E0A4505
	v_rcp_f32_e32 v6, v6                                       // 000000005D74: 7E0C4506
	v_rcp_f32_e32 v7, v7                                       // 000000005D78: 7E0E4507
	v_mul_f32_e32 v108, v108, v4                               // 000000005D7C: 0AD8096C
	v_mul_f32_e32 v109, v109, v5                               // 000000005D80: 0ADA0B6D
	v_mul_f32_e32 v110, v110, v6                               // 000000005D84: 0ADC0D6E
	v_mul_f32_e32 v111, v111, v7                               // 000000005D88: 0ADE0F6F
	v_mul_f32_e32 v108, v108, v172                             // 000000005D8C: 0AD9596C
	v_mul_f32_e32 v109, v109, v173                             // 000000005D90: 0ADB5B6D
	v_mul_f32_e32 v110, v110, v174                             // 000000005D94: 0ADD5D6E
	v_mul_f32_e32 v111, v111, v175                             // 000000005D98: 0ADF5F6F
	v_mul_f32_e64 v4, -v112, s6                                // 000000005D9C: D1050004 20000D70
	v_mul_f32_e64 v5, -v113, s6                                // 000000005DA4: D1050005 20000D71
	v_mul_f32_e64 v6, -v114, s6                                // 000000005DAC: D1050006 20000D72
	v_mul_f32_e64 v7, -v115, s6                                // 000000005DB4: D1050007 20000D73
	v_exp_f32_e32 v4, v4                                       // 000000005DBC: 7E084104
	v_exp_f32_e32 v5, v5                                       // 000000005DC0: 7E0A4105
	v_exp_f32_e32 v6, v6                                       // 000000005DC4: 7E0C4106
	v_exp_f32_e32 v7, v7                                       // 000000005DC8: 7E0E4107
	v_add_f32_e64 v4, v4, 1.0                                  // 000000005DCC: D1010004 0001E504
	v_add_f32_e64 v5, v5, 1.0                                  // 000000005DD4: D1010005 0001E505
	v_add_f32_e64 v6, v6, 1.0                                  // 000000005DDC: D1010006 0001E506
	v_add_f32_e64 v7, v7, 1.0                                  // 000000005DE4: D1010007 0001E507
	v_rcp_f32_e32 v4, v4                                       // 000000005DEC: 7E084504
	v_rcp_f32_e32 v5, v5                                       // 000000005DF0: 7E0A4505
	v_rcp_f32_e32 v6, v6                                       // 000000005DF4: 7E0C4506
	v_rcp_f32_e32 v7, v7                                       // 000000005DF8: 7E0E4507
	v_mul_f32_e32 v112, v112, v4                               // 000000005DFC: 0AE00970
	v_mul_f32_e32 v113, v113, v5                               // 000000005E00: 0AE20B71
	v_mul_f32_e32 v114, v114, v6                               // 000000005E04: 0AE40D72
	v_mul_f32_e32 v115, v115, v7                               // 000000005E08: 0AE60F73
	v_mul_f32_e32 v112, v112, v176                             // 000000005E0C: 0AE16170
	v_mul_f32_e32 v113, v113, v177                             // 000000005E10: 0AE36371
	v_mul_f32_e32 v114, v114, v178                             // 000000005E14: 0AE56572
	v_mul_f32_e32 v115, v115, v179                             // 000000005E18: 0AE76773
	v_mul_f32_e64 v4, -v116, s6                                // 000000005E1C: D1050004 20000D74
	v_mul_f32_e64 v5, -v117, s6                                // 000000005E24: D1050005 20000D75
	v_mul_f32_e64 v6, -v118, s6                                // 000000005E2C: D1050006 20000D76
	v_mul_f32_e64 v7, -v119, s6                                // 000000005E34: D1050007 20000D77
	v_exp_f32_e32 v4, v4                                       // 000000005E3C: 7E084104
	v_exp_f32_e32 v5, v5                                       // 000000005E40: 7E0A4105
	v_exp_f32_e32 v6, v6                                       // 000000005E44: 7E0C4106
	v_exp_f32_e32 v7, v7                                       // 000000005E48: 7E0E4107
	v_add_f32_e64 v4, v4, 1.0                                  // 000000005E4C: D1010004 0001E504
	v_add_f32_e64 v5, v5, 1.0                                  // 000000005E54: D1010005 0001E505
	v_add_f32_e64 v6, v6, 1.0                                  // 000000005E5C: D1010006 0001E506
	v_add_f32_e64 v7, v7, 1.0                                  // 000000005E64: D1010007 0001E507
	v_rcp_f32_e32 v4, v4                                       // 000000005E6C: 7E084504
	v_rcp_f32_e32 v5, v5                                       // 000000005E70: 7E0A4505
	v_rcp_f32_e32 v6, v6                                       // 000000005E74: 7E0C4506
	v_rcp_f32_e32 v7, v7                                       // 000000005E78: 7E0E4507
	v_mul_f32_e32 v116, v116, v4                               // 000000005E7C: 0AE80974
	v_mul_f32_e32 v117, v117, v5                               // 000000005E80: 0AEA0B75
	v_mul_f32_e32 v118, v118, v6                               // 000000005E84: 0AEC0D76
	v_mul_f32_e32 v119, v119, v7                               // 000000005E88: 0AEE0F77
	v_mul_f32_e32 v116, v116, v180                             // 000000005E8C: 0AE96974
	v_mul_f32_e32 v117, v117, v181                             // 000000005E90: 0AEB6B75
	v_mul_f32_e32 v118, v118, v182                             // 000000005E94: 0AED6D76
	v_mul_f32_e32 v119, v119, v183                             // 000000005E98: 0AEF6F77
	v_mul_f32_e64 v4, -v120, s6                                // 000000005E9C: D1050004 20000D78
	v_mul_f32_e64 v5, -v121, s6                                // 000000005EA4: D1050005 20000D79
	v_mul_f32_e64 v6, -v122, s6                                // 000000005EAC: D1050006 20000D7A
	v_mul_f32_e64 v7, -v123, s6                                // 000000005EB4: D1050007 20000D7B
	v_exp_f32_e32 v4, v4                                       // 000000005EBC: 7E084104
	v_exp_f32_e32 v5, v5                                       // 000000005EC0: 7E0A4105
	v_exp_f32_e32 v6, v6                                       // 000000005EC4: 7E0C4106
	v_exp_f32_e32 v7, v7                                       // 000000005EC8: 7E0E4107
	v_add_f32_e64 v4, v4, 1.0                                  // 000000005ECC: D1010004 0001E504
	v_add_f32_e64 v5, v5, 1.0                                  // 000000005ED4: D1010005 0001E505
	v_add_f32_e64 v6, v6, 1.0                                  // 000000005EDC: D1010006 0001E506
	v_add_f32_e64 v7, v7, 1.0                                  // 000000005EE4: D1010007 0001E507
	v_rcp_f32_e32 v4, v4                                       // 000000005EEC: 7E084504
	v_rcp_f32_e32 v5, v5                                       // 000000005EF0: 7E0A4505
	v_rcp_f32_e32 v6, v6                                       // 000000005EF4: 7E0C4506
	v_rcp_f32_e32 v7, v7                                       // 000000005EF8: 7E0E4507
	v_mul_f32_e32 v120, v120, v4                               // 000000005EFC: 0AF00978
	v_mul_f32_e32 v121, v121, v5                               // 000000005F00: 0AF20B79
	v_mul_f32_e32 v122, v122, v6                               // 000000005F04: 0AF40D7A
	v_mul_f32_e32 v123, v123, v7                               // 000000005F08: 0AF60F7B
	v_mul_f32_e32 v120, v120, v184                             // 000000005F0C: 0AF17178
	v_mul_f32_e32 v121, v121, v185                             // 000000005F10: 0AF37379
	v_mul_f32_e32 v122, v122, v186                             // 000000005F14: 0AF5757A
	v_mul_f32_e32 v123, v123, v187                             // 000000005F18: 0AF7777B
	v_mul_f32_e64 v4, -v124, s6                                // 000000005F1C: D1050004 20000D7C
	v_mul_f32_e64 v5, -v125, s6                                // 000000005F24: D1050005 20000D7D
	v_mul_f32_e64 v6, -v126, s6                                // 000000005F2C: D1050006 20000D7E
	v_mul_f32_e64 v7, -v127, s6                                // 000000005F34: D1050007 20000D7F
	v_exp_f32_e32 v4, v4                                       // 000000005F3C: 7E084104
	v_exp_f32_e32 v5, v5                                       // 000000005F40: 7E0A4105
	v_exp_f32_e32 v6, v6                                       // 000000005F44: 7E0C4106
	v_exp_f32_e32 v7, v7                                       // 000000005F48: 7E0E4107
	v_add_f32_e64 v4, v4, 1.0                                  // 000000005F4C: D1010004 0001E504
	v_add_f32_e64 v5, v5, 1.0                                  // 000000005F54: D1010005 0001E505
	v_add_f32_e64 v6, v6, 1.0                                  // 000000005F5C: D1010006 0001E506
	v_add_f32_e64 v7, v7, 1.0                                  // 000000005F64: D1010007 0001E507
	v_rcp_f32_e32 v4, v4                                       // 000000005F6C: 7E084504
	v_rcp_f32_e32 v5, v5                                       // 000000005F70: 7E0A4505
	v_rcp_f32_e32 v6, v6                                       // 000000005F74: 7E0C4506
	v_rcp_f32_e32 v7, v7                                       // 000000005F78: 7E0E4507
	v_mul_f32_e32 v124, v124, v4                               // 000000005F7C: 0AF8097C
	v_mul_f32_e32 v125, v125, v5                               // 000000005F80: 0AFA0B7D
	v_mul_f32_e32 v126, v126, v6                               // 000000005F84: 0AFC0D7E
	v_mul_f32_e32 v127, v127, v7                               // 000000005F88: 0AFE0F7F
	v_mul_f32_e32 v124, v124, v188                             // 000000005F8C: 0AF9797C
	v_mul_f32_e32 v125, v125, v189                             // 000000005F90: 0AFB7B7D
	v_mul_f32_e32 v126, v126, v190                             // 000000005F94: 0AFD7D7E
	v_mul_f32_e32 v127, v127, v191                             // 000000005F98: 0AFF7F7F
	v_mul_f32_e64 v4, -v128, s6                                // 000000005F9C: D1050004 20000D80
	v_mul_f32_e64 v5, -v129, s6                                // 000000005FA4: D1050005 20000D81
	v_mul_f32_e64 v6, -v130, s6                                // 000000005FAC: D1050006 20000D82
	v_mul_f32_e64 v7, -v131, s6                                // 000000005FB4: D1050007 20000D83
	v_exp_f32_e32 v4, v4                                       // 000000005FBC: 7E084104
	v_exp_f32_e32 v5, v5                                       // 000000005FC0: 7E0A4105
	v_exp_f32_e32 v6, v6                                       // 000000005FC4: 7E0C4106
	v_exp_f32_e32 v7, v7                                       // 000000005FC8: 7E0E4107
	v_add_f32_e64 v4, v4, 1.0                                  // 000000005FCC: D1010004 0001E504
	v_add_f32_e64 v5, v5, 1.0                                  // 000000005FD4: D1010005 0001E505
	v_add_f32_e64 v6, v6, 1.0                                  // 000000005FDC: D1010006 0001E506
	v_add_f32_e64 v7, v7, 1.0                                  // 000000005FE4: D1010007 0001E507
	v_rcp_f32_e32 v4, v4                                       // 000000005FEC: 7E084504
	v_rcp_f32_e32 v5, v5                                       // 000000005FF0: 7E0A4505
	v_rcp_f32_e32 v6, v6                                       // 000000005FF4: 7E0C4506
	v_rcp_f32_e32 v7, v7                                       // 000000005FF8: 7E0E4507
	v_mul_f32_e32 v128, v128, v4                               // 000000005FFC: 0B000980
	v_mul_f32_e32 v129, v129, v5                               // 000000006000: 0B020B81
	v_mul_f32_e32 v130, v130, v6                               // 000000006004: 0B040D82
	v_mul_f32_e32 v131, v131, v7                               // 000000006008: 0B060F83
	v_mul_f32_e32 v128, v128, v192                             // 00000000600C: 0B018180
	v_mul_f32_e32 v129, v129, v193                             // 000000006010: 0B038381
	v_mul_f32_e32 v130, v130, v194                             // 000000006014: 0B058582
	v_mul_f32_e32 v131, v131, v195                             // 000000006018: 0B078783
	v_mul_f32_e64 v4, -v132, s6                                // 00000000601C: D1050004 20000D84
	v_mul_f32_e64 v5, -v133, s6                                // 000000006024: D1050005 20000D85
	v_mul_f32_e64 v6, -v134, s6                                // 00000000602C: D1050006 20000D86
	v_mul_f32_e64 v7, -v135, s6                                // 000000006034: D1050007 20000D87
	v_exp_f32_e32 v4, v4                                       // 00000000603C: 7E084104
	v_exp_f32_e32 v5, v5                                       // 000000006040: 7E0A4105
	v_exp_f32_e32 v6, v6                                       // 000000006044: 7E0C4106
	v_exp_f32_e32 v7, v7                                       // 000000006048: 7E0E4107
	v_add_f32_e64 v4, v4, 1.0                                  // 00000000604C: D1010004 0001E504
	v_add_f32_e64 v5, v5, 1.0                                  // 000000006054: D1010005 0001E505
	v_add_f32_e64 v6, v6, 1.0                                  // 00000000605C: D1010006 0001E506
	v_add_f32_e64 v7, v7, 1.0                                  // 000000006064: D1010007 0001E507
	v_rcp_f32_e32 v4, v4                                       // 00000000606C: 7E084504
	v_rcp_f32_e32 v5, v5                                       // 000000006070: 7E0A4505
	v_rcp_f32_e32 v6, v6                                       // 000000006074: 7E0C4506
	v_rcp_f32_e32 v7, v7                                       // 000000006078: 7E0E4507
	v_mul_f32_e32 v132, v132, v4                               // 00000000607C: 0B080984
	v_mul_f32_e32 v133, v133, v5                               // 000000006080: 0B0A0B85
	v_mul_f32_e32 v134, v134, v6                               // 000000006084: 0B0C0D86
	v_mul_f32_e32 v135, v135, v7                               // 000000006088: 0B0E0F87
	v_mul_f32_e32 v132, v132, v196                             // 00000000608C: 0B098984
	v_mul_f32_e32 v133, v133, v197                             // 000000006090: 0B0B8B85
	v_mul_f32_e32 v134, v134, v198                             // 000000006094: 0B0D8D86
	v_mul_f32_e32 v135, v135, v199                             // 000000006098: 0B0F8F87
	v_mul_f32_e64 v4, -v136, s6                                // 00000000609C: D1050004 20000D88
	v_mul_f32_e64 v5, -v137, s6                                // 0000000060A4: D1050005 20000D89
	v_mul_f32_e64 v6, -v138, s6                                // 0000000060AC: D1050006 20000D8A
	v_mul_f32_e64 v7, -v139, s6                                // 0000000060B4: D1050007 20000D8B
	v_exp_f32_e32 v4, v4                                       // 0000000060BC: 7E084104
	v_exp_f32_e32 v5, v5                                       // 0000000060C0: 7E0A4105
	v_exp_f32_e32 v6, v6                                       // 0000000060C4: 7E0C4106
	v_exp_f32_e32 v7, v7                                       // 0000000060C8: 7E0E4107
	v_add_f32_e64 v4, v4, 1.0                                  // 0000000060CC: D1010004 0001E504
	v_add_f32_e64 v5, v5, 1.0                                  // 0000000060D4: D1010005 0001E505
	v_add_f32_e64 v6, v6, 1.0                                  // 0000000060DC: D1010006 0001E506
	v_add_f32_e64 v7, v7, 1.0                                  // 0000000060E4: D1010007 0001E507
	v_rcp_f32_e32 v4, v4                                       // 0000000060EC: 7E084504
	v_rcp_f32_e32 v5, v5                                       // 0000000060F0: 7E0A4505
	v_rcp_f32_e32 v6, v6                                       // 0000000060F4: 7E0C4506
	v_rcp_f32_e32 v7, v7                                       // 0000000060F8: 7E0E4507
	v_mul_f32_e32 v136, v136, v4                               // 0000000060FC: 0B100988
	v_mul_f32_e32 v137, v137, v5                               // 000000006100: 0B120B89
	v_mul_f32_e32 v138, v138, v6                               // 000000006104: 0B140D8A
	v_mul_f32_e32 v139, v139, v7                               // 000000006108: 0B160F8B
	v_mul_f32_e32 v136, v136, v200                             // 00000000610C: 0B119188
	v_mul_f32_e32 v137, v137, v201                             // 000000006110: 0B139389
	v_mul_f32_e32 v138, v138, v202                             // 000000006114: 0B15958A
	v_mul_f32_e32 v139, v139, v203                             // 000000006118: 0B17978B
	v_mul_f32_e64 v4, -v140, s6                                // 00000000611C: D1050004 20000D8C
	v_mul_f32_e64 v5, -v141, s6                                // 000000006124: D1050005 20000D8D
	v_mul_f32_e64 v6, -v142, s6                                // 00000000612C: D1050006 20000D8E
	v_mul_f32_e64 v7, -v143, s6                                // 000000006134: D1050007 20000D8F
	v_exp_f32_e32 v4, v4                                       // 00000000613C: 7E084104
	v_exp_f32_e32 v5, v5                                       // 000000006140: 7E0A4105
	v_exp_f32_e32 v6, v6                                       // 000000006144: 7E0C4106
	v_exp_f32_e32 v7, v7                                       // 000000006148: 7E0E4107
	v_add_f32_e64 v4, v4, 1.0                                  // 00000000614C: D1010004 0001E504
	v_add_f32_e64 v5, v5, 1.0                                  // 000000006154: D1010005 0001E505
	v_add_f32_e64 v6, v6, 1.0                                  // 00000000615C: D1010006 0001E506
	v_add_f32_e64 v7, v7, 1.0                                  // 000000006164: D1010007 0001E507
	v_rcp_f32_e32 v4, v4                                       // 00000000616C: 7E084504
	v_rcp_f32_e32 v5, v5                                       // 000000006170: 7E0A4505
	v_rcp_f32_e32 v6, v6                                       // 000000006174: 7E0C4506
	v_rcp_f32_e32 v7, v7                                       // 000000006178: 7E0E4507
	v_mul_f32_e32 v140, v140, v4                               // 00000000617C: 0B18098C
	v_mul_f32_e32 v141, v141, v5                               // 000000006180: 0B1A0B8D
	v_mul_f32_e32 v142, v142, v6                               // 000000006184: 0B1C0D8E
	v_mul_f32_e32 v143, v143, v7                               // 000000006188: 0B1E0F8F
	v_mul_f32_e32 v140, v140, v204                             // 00000000618C: 0B19998C
	v_mul_f32_e32 v141, v141, v205                             // 000000006190: 0B1B9B8D
	v_mul_f32_e32 v142, v142, v206                             // 000000006194: 0B1D9D8E
	v_mul_f32_e32 v143, v143, v207                             // 000000006198: 0B1F9F8F

000000000000619c <label_0DE7>:
	s_cmp_eq_u32 s7, 0                                         // 00000000619C: BF068007
	s_cbranch_scc0 label_0E03                                  // 0000000061A0: BF84001A
	v_and_b32_e32 v4, 15, v0                                   // 0000000061A4: 2608008F
	v_lshlrev_b32_e32 v4, 2, v4                                // 0000000061A8: 24080882
	buffer_load_dword v28, v4, s[12:15], 0 offen               // 0000000061AC: E0501000 80031C04
	v_add_u32_e32 v4, 64, v4                                   // 0000000061B4: 680808C0
	buffer_load_dword v29, v4, s[12:15], 0 offen               // 0000000061B8: E0501000 80031D04
	v_add_u32_e32 v4, 64, v4                                   // 0000000061C0: 680808C0
	buffer_load_dword v30, v4, s[12:15], 0 offen               // 0000000061C4: E0501000 80031E04
	v_add_u32_e32 v4, 64, v4                                   // 0000000061CC: 680808C0
	buffer_load_dword v31, v4, s[12:15], 0 offen               // 0000000061D0: E0501000 80031F04
	v_add_u32_e32 v4, 64, v4                                   // 0000000061D8: 680808C0
	buffer_load_dword v32, v4, s[12:15], 0 offen               // 0000000061DC: E0501000 80032004
	v_add_u32_e32 v4, 64, v4                                   // 0000000061E4: 680808C0
	buffer_load_dword v33, v4, s[12:15], 0 offen               // 0000000061E8: E0501000 80032104
	v_add_u32_e32 v4, 64, v4                                   // 0000000061F0: 680808C0
	buffer_load_dword v34, v4, s[12:15], 0 offen               // 0000000061F4: E0501000 80032204
	v_add_u32_e32 v4, 64, v4                                   // 0000000061FC: 680808C0
	buffer_load_dword v35, v4, s[12:15], 0 offen               // 000000006200: E0501000 80032304
	v_add_u32_e32 v4, 64, v4                                   // 000000006208: 680808C0

000000000000620c <label_0E03>:
	v_lshlrev_b32_e32 v4, 2, v0                                // 00000000620C: 24080082
	s_mul_i32 s60, 0x100, s7                                   // 000000006210: 923C07FF 00000100
	v_add_u32_e32 v152, s60, v4                                // 000000006218: 6930083C
	v_and_b32_e32 v4, 15, v0                                   // 00000000621C: 2608008F
	v_lshlrev_b32_e32 v153, 2, v4                              // 000000006220: 25320882
	s_waitcnt lgkmcnt(0)                                       // 000000006224: BF8CC07F
	s_barrier                                                  // 000000006228: BF8A0000
	v_mov_b32_e32 v144, 0x358637bd                             // 00000000622C: 7F2002FF 358637BD
	v_max3_f32 v144, |v80|, |v81|, v144                        // 000000006234: D1D30390 0642A350
	v_max3_f32 v144, |v82|, |v83|, v144                        // 00000000623C: D1D30390 0642A752
	v_max3_f32 v144, |v112|, |v113|, v144                      // 000000006244: D1D30390 0642E370
	v_max3_f32 v144, |v114|, |v115|, v144                      // 00000000624C: D1D30390 0642E772
	ds_write_b32 v152, v144                                    // 000000006254: D81A0000 00009098
	s_waitcnt lgkmcnt(0)                                       // 00000000625C: BF8CC07F
	s_barrier                                                  // 000000006260: BF8A0000
	ds_read_b32 v4, v153                                       // 000000006264: D86C0000 04000099
	ds_read_b32 v5, v153 offset:64                             // 00000000626C: D86C0040 05000099
	ds_read_b32 v6, v153 offset:128                            // 000000006274: D86C0080 06000099
	ds_read_b32 v7, v153 offset:192                            // 00000000627C: D86C00C0 07000099
	ds_read_b32 v8, v153 offset:256                            // 000000006284: D86C0100 08000099
	ds_read_b32 v9, v153 offset:320                            // 00000000628C: D86C0140 09000099
	ds_read_b32 v10, v153 offset:384                           // 000000006294: D86C0180 0A000099
	ds_read_b32 v11, v153 offset:448                           // 00000000629C: D86C01C0 0B000099
	ds_read_b32 v12, v153 offset:512                           // 0000000062A4: D86C0200 0C000099
	ds_read_b32 v13, v153 offset:576                           // 0000000062AC: D86C0240 0D000099
	ds_read_b32 v14, v153 offset:640                           // 0000000062B4: D86C0280 0E000099
	ds_read_b32 v15, v153 offset:704                           // 0000000062BC: D86C02C0 0F000099
	ds_read_b32 v16, v153 offset:768                           // 0000000062C4: D86C0300 10000099
	ds_read_b32 v17, v153 offset:832                           // 0000000062CC: D86C0340 11000099
	ds_read_b32 v18, v153 offset:896                           // 0000000062D4: D86C0380 12000099
	ds_read_b32 v19, v153 offset:960                           // 0000000062DC: D86C03C0 13000099
	s_waitcnt lgkmcnt(0)                                       // 0000000062E4: BF8CC07F
	s_barrier                                                  // 0000000062E8: BF8A0000
	v_max3_f32 v144, |v4|, |v5|, v144                          // 0000000062EC: D1D30390 06420B04
	v_max3_f32 v144, |v6|, |v7|, v144                          // 0000000062F4: D1D30390 06420F06
	v_max3_f32 v144, |v8|, |v9|, v144                          // 0000000062FC: D1D30390 06421308
	v_max3_f32 v144, |v10|, |v11|, v144                        // 000000006304: D1D30390 0642170A
	v_max3_f32 v144, |v12|, |v13|, v144                        // 00000000630C: D1D30390 06421B0C
	v_max3_f32 v144, |v14|, |v15|, v144                        // 000000006314: D1D30390 06421F0E
	v_max3_f32 v144, |v16|, |v17|, v144                        // 00000000631C: D1D30390 06422310
	v_max3_f32 v144, |v18|, |v19|, v144                        // 000000006324: D1D30390 06422712
	v_rcp_f32_e32 v144, v144                                   // 00000000632C: 7F204590
	v_mov_b32_e32 v4, 0x43700000                               // 000000006330: 7E0802FF 43700000
	v_mul_f32_e32 v144, v4, v144                               // 000000006338: 0B212104
	v_mov_b32_e32 v4, v144                                     // 00000000633C: 7E080390
	v_mov_b32_e32 v5, v4                                       // 000000006340: 7E0A0304
	v_pk_mul_f32 v[80:81], v[4:5], v[80:81]                    // 000000006344: D3B14050 1802A104
	v_pk_mul_f32 v[82:83], v[4:5], v[82:83]                    // 00000000634C: D3B14052 1802A504
	v_cvt_pk_fp8_f32 v80, v80, v81                             // 000000006354: D2A20050 0002A350
	v_cvt_pk_fp8_f32 v80, v82, v83 op_sel:[0,0,1]              // 00000000635C: D2A24050 0002A752
	v_pk_mul_f32 v[112:113], v[4:5], v[112:113]                // 000000006364: D3B14070 1802E104
	v_pk_mul_f32 v[114:115], v[4:5], v[114:115]                // 00000000636C: D3B14072 1802E504
	v_cvt_pk_fp8_f32 v112, v112, v113                          // 000000006374: D2A20070 0002E370
	v_cvt_pk_fp8_f32 v112, v114, v115 op_sel:[0,0,1]           // 00000000637C: D2A24070 0002E772
	v_rcp_f32_e32 v144, v144                                   // 000000006384: 7F204590
	v_mov_b32_e32 v145, 0x358637bd                             // 000000006388: 7F2202FF 358637BD
	v_max3_f32 v145, |v84|, |v85|, v145                        // 000000006390: D1D30391 0646AB54
	v_max3_f32 v145, |v86|, |v87|, v145                        // 000000006398: D1D30391 0646AF56
	v_max3_f32 v145, |v116|, |v117|, v145                      // 0000000063A0: D1D30391 0646EB74
	v_max3_f32 v145, |v118|, |v119|, v145                      // 0000000063A8: D1D30391 0646EF76
	ds_write_b32 v152, v145                                    // 0000000063B0: D81A0000 00009198
	s_waitcnt lgkmcnt(0)                                       // 0000000063B8: BF8CC07F
	s_barrier                                                  // 0000000063BC: BF8A0000
	ds_read_b32 v4, v153                                       // 0000000063C0: D86C0000 04000099
	ds_read_b32 v5, v153 offset:64                             // 0000000063C8: D86C0040 05000099
	ds_read_b32 v6, v153 offset:128                            // 0000000063D0: D86C0080 06000099
	ds_read_b32 v7, v153 offset:192                            // 0000000063D8: D86C00C0 07000099
	ds_read_b32 v8, v153 offset:256                            // 0000000063E0: D86C0100 08000099
	ds_read_b32 v9, v153 offset:320                            // 0000000063E8: D86C0140 09000099
	ds_read_b32 v10, v153 offset:384                           // 0000000063F0: D86C0180 0A000099
	ds_read_b32 v11, v153 offset:448                           // 0000000063F8: D86C01C0 0B000099
	ds_read_b32 v12, v153 offset:512                           // 000000006400: D86C0200 0C000099
	ds_read_b32 v13, v153 offset:576                           // 000000006408: D86C0240 0D000099
	ds_read_b32 v14, v153 offset:640                           // 000000006410: D86C0280 0E000099
	ds_read_b32 v15, v153 offset:704                           // 000000006418: D86C02C0 0F000099
	ds_read_b32 v16, v153 offset:768                           // 000000006420: D86C0300 10000099
	ds_read_b32 v17, v153 offset:832                           // 000000006428: D86C0340 11000099
	ds_read_b32 v18, v153 offset:896                           // 000000006430: D86C0380 12000099
	ds_read_b32 v19, v153 offset:960                           // 000000006438: D86C03C0 13000099
	s_waitcnt lgkmcnt(0)                                       // 000000006440: BF8CC07F
	s_barrier                                                  // 000000006444: BF8A0000
	v_max3_f32 v145, |v4|, |v5|, v145                          // 000000006448: D1D30391 06460B04
	v_max3_f32 v145, |v6|, |v7|, v145                          // 000000006450: D1D30391 06460F06
	v_max3_f32 v145, |v8|, |v9|, v145                          // 000000006458: D1D30391 06461308
	v_max3_f32 v145, |v10|, |v11|, v145                        // 000000006460: D1D30391 0646170A
	v_max3_f32 v145, |v12|, |v13|, v145                        // 000000006468: D1D30391 06461B0C
	v_max3_f32 v145, |v14|, |v15|, v145                        // 000000006470: D1D30391 06461F0E
	v_max3_f32 v145, |v16|, |v17|, v145                        // 000000006478: D1D30391 06462310
	v_max3_f32 v145, |v18|, |v19|, v145                        // 000000006480: D1D30391 06462712
	v_rcp_f32_e32 v145, v145                                   // 000000006488: 7F224591
	v_mov_b32_e32 v4, 0x43700000                               // 00000000648C: 7E0802FF 43700000
	v_mul_f32_e32 v145, v4, v145                               // 000000006494: 0B232304
	v_mov_b32_e32 v4, v145                                     // 000000006498: 7E080391
	v_mov_b32_e32 v5, v4                                       // 00000000649C: 7E0A0304
	v_pk_mul_f32 v[84:85], v[4:5], v[84:85]                    // 0000000064A0: D3B14054 1802A904
	v_pk_mul_f32 v[86:87], v[4:5], v[86:87]                    // 0000000064A8: D3B14056 1802AD04
	v_cvt_pk_fp8_f32 v84, v84, v85                             // 0000000064B0: D2A20054 0002AB54
	v_cvt_pk_fp8_f32 v84, v86, v87 op_sel:[0,0,1]              // 0000000064B8: D2A24054 0002AF56
	v_pk_mul_f32 v[116:117], v[4:5], v[116:117]                // 0000000064C0: D3B14074 1802E904
	v_pk_mul_f32 v[118:119], v[4:5], v[118:119]                // 0000000064C8: D3B14076 1802ED04
	v_cvt_pk_fp8_f32 v116, v116, v117                          // 0000000064D0: D2A20074 0002EB74
	v_cvt_pk_fp8_f32 v116, v118, v119 op_sel:[0,0,1]           // 0000000064D8: D2A24074 0002EF76
	v_rcp_f32_e32 v145, v145                                   // 0000000064E0: 7F224591
	v_mov_b32_e32 v146, 0x358637bd                             // 0000000064E4: 7F2402FF 358637BD
	v_max3_f32 v146, |v88|, |v89|, v146                        // 0000000064EC: D1D30392 064AB358
	v_max3_f32 v146, |v90|, |v91|, v146                        // 0000000064F4: D1D30392 064AB75A
	v_max3_f32 v146, |v120|, |v121|, v146                      // 0000000064FC: D1D30392 064AF378
	v_max3_f32 v146, |v122|, |v123|, v146                      // 000000006504: D1D30392 064AF77A
	ds_write_b32 v152, v146                                    // 00000000650C: D81A0000 00009298
	s_waitcnt lgkmcnt(0)                                       // 000000006514: BF8CC07F
	s_barrier                                                  // 000000006518: BF8A0000
	ds_read_b32 v4, v153                                       // 00000000651C: D86C0000 04000099
	ds_read_b32 v5, v153 offset:64                             // 000000006524: D86C0040 05000099
	ds_read_b32 v6, v153 offset:128                            // 00000000652C: D86C0080 06000099
	ds_read_b32 v7, v153 offset:192                            // 000000006534: D86C00C0 07000099
	ds_read_b32 v8, v153 offset:256                            // 00000000653C: D86C0100 08000099
	ds_read_b32 v9, v153 offset:320                            // 000000006544: D86C0140 09000099
	ds_read_b32 v10, v153 offset:384                           // 00000000654C: D86C0180 0A000099
	ds_read_b32 v11, v153 offset:448                           // 000000006554: D86C01C0 0B000099
	ds_read_b32 v12, v153 offset:512                           // 00000000655C: D86C0200 0C000099
	ds_read_b32 v13, v153 offset:576                           // 000000006564: D86C0240 0D000099
	ds_read_b32 v14, v153 offset:640                           // 00000000656C: D86C0280 0E000099
	ds_read_b32 v15, v153 offset:704                           // 000000006574: D86C02C0 0F000099
	ds_read_b32 v16, v153 offset:768                           // 00000000657C: D86C0300 10000099
	ds_read_b32 v17, v153 offset:832                           // 000000006584: D86C0340 11000099
	ds_read_b32 v18, v153 offset:896                           // 00000000658C: D86C0380 12000099
	ds_read_b32 v19, v153 offset:960                           // 000000006594: D86C03C0 13000099
	s_waitcnt lgkmcnt(0)                                       // 00000000659C: BF8CC07F
	s_barrier                                                  // 0000000065A0: BF8A0000
	v_max3_f32 v146, |v4|, |v5|, v146                          // 0000000065A4: D1D30392 064A0B04
	v_max3_f32 v146, |v6|, |v7|, v146                          // 0000000065AC: D1D30392 064A0F06
	v_max3_f32 v146, |v8|, |v9|, v146                          // 0000000065B4: D1D30392 064A1308
	v_max3_f32 v146, |v10|, |v11|, v146                        // 0000000065BC: D1D30392 064A170A
	v_max3_f32 v146, |v12|, |v13|, v146                        // 0000000065C4: D1D30392 064A1B0C
	v_max3_f32 v146, |v14|, |v15|, v146                        // 0000000065CC: D1D30392 064A1F0E
	v_max3_f32 v146, |v16|, |v17|, v146                        // 0000000065D4: D1D30392 064A2310
	v_max3_f32 v146, |v18|, |v19|, v146                        // 0000000065DC: D1D30392 064A2712
	v_rcp_f32_e32 v146, v146                                   // 0000000065E4: 7F244592
	v_mov_b32_e32 v4, 0x43700000                               // 0000000065E8: 7E0802FF 43700000
	v_mul_f32_e32 v146, v4, v146                               // 0000000065F0: 0B252504
	v_mov_b32_e32 v4, v146                                     // 0000000065F4: 7E080392
	v_mov_b32_e32 v5, v4                                       // 0000000065F8: 7E0A0304
	v_pk_mul_f32 v[88:89], v[4:5], v[88:89]                    // 0000000065FC: D3B14058 1802B104
	v_pk_mul_f32 v[90:91], v[4:5], v[90:91]                    // 000000006604: D3B1405A 1802B504
	v_cvt_pk_fp8_f32 v88, v88, v89                             // 00000000660C: D2A20058 0002B358
	v_cvt_pk_fp8_f32 v88, v90, v91 op_sel:[0,0,1]              // 000000006614: D2A24058 0002B75A
	v_pk_mul_f32 v[120:121], v[4:5], v[120:121]                // 00000000661C: D3B14078 1802F104
	v_pk_mul_f32 v[122:123], v[4:5], v[122:123]                // 000000006624: D3B1407A 1802F504
	v_cvt_pk_fp8_f32 v120, v120, v121                          // 00000000662C: D2A20078 0002F378
	v_cvt_pk_fp8_f32 v120, v122, v123 op_sel:[0,0,1]           // 000000006634: D2A24078 0002F77A
	v_rcp_f32_e32 v146, v146                                   // 00000000663C: 7F244592
	v_mov_b32_e32 v147, 0x358637bd                             // 000000006640: 7F2602FF 358637BD
	v_max3_f32 v147, |v92|, |v93|, v147                        // 000000006648: D1D30393 064EBB5C
	v_max3_f32 v147, |v94|, |v95|, v147                        // 000000006650: D1D30393 064EBF5E
	v_max3_f32 v147, |v124|, |v125|, v147                      // 000000006658: D1D30393 064EFB7C
	v_max3_f32 v147, |v126|, |v127|, v147                      // 000000006660: D1D30393 064EFF7E
	ds_write_b32 v152, v147                                    // 000000006668: D81A0000 00009398
	s_waitcnt lgkmcnt(0)                                       // 000000006670: BF8CC07F
	s_barrier                                                  // 000000006674: BF8A0000
	ds_read_b32 v4, v153                                       // 000000006678: D86C0000 04000099
	ds_read_b32 v5, v153 offset:64                             // 000000006680: D86C0040 05000099
	ds_read_b32 v6, v153 offset:128                            // 000000006688: D86C0080 06000099
	ds_read_b32 v7, v153 offset:192                            // 000000006690: D86C00C0 07000099
	ds_read_b32 v8, v153 offset:256                            // 000000006698: D86C0100 08000099
	ds_read_b32 v9, v153 offset:320                            // 0000000066A0: D86C0140 09000099
	ds_read_b32 v10, v153 offset:384                           // 0000000066A8: D86C0180 0A000099
	ds_read_b32 v11, v153 offset:448                           // 0000000066B0: D86C01C0 0B000099
	ds_read_b32 v12, v153 offset:512                           // 0000000066B8: D86C0200 0C000099
	ds_read_b32 v13, v153 offset:576                           // 0000000066C0: D86C0240 0D000099
	ds_read_b32 v14, v153 offset:640                           // 0000000066C8: D86C0280 0E000099
	ds_read_b32 v15, v153 offset:704                           // 0000000066D0: D86C02C0 0F000099
	ds_read_b32 v16, v153 offset:768                           // 0000000066D8: D86C0300 10000099
	ds_read_b32 v17, v153 offset:832                           // 0000000066E0: D86C0340 11000099
	ds_read_b32 v18, v153 offset:896                           // 0000000066E8: D86C0380 12000099
	ds_read_b32 v19, v153 offset:960                           // 0000000066F0: D86C03C0 13000099
	s_waitcnt lgkmcnt(0)                                       // 0000000066F8: BF8CC07F
	s_barrier                                                  // 0000000066FC: BF8A0000
	v_max3_f32 v147, |v4|, |v5|, v147                          // 000000006700: D1D30393 064E0B04
	v_max3_f32 v147, |v6|, |v7|, v147                          // 000000006708: D1D30393 064E0F06
	v_max3_f32 v147, |v8|, |v9|, v147                          // 000000006710: D1D30393 064E1308
	v_max3_f32 v147, |v10|, |v11|, v147                        // 000000006718: D1D30393 064E170A
	v_max3_f32 v147, |v12|, |v13|, v147                        // 000000006720: D1D30393 064E1B0C
	v_max3_f32 v147, |v14|, |v15|, v147                        // 000000006728: D1D30393 064E1F0E
	v_max3_f32 v147, |v16|, |v17|, v147                        // 000000006730: D1D30393 064E2310
	v_max3_f32 v147, |v18|, |v19|, v147                        // 000000006738: D1D30393 064E2712
	v_rcp_f32_e32 v147, v147                                   // 000000006740: 7F264593
	v_mov_b32_e32 v4, 0x43700000                               // 000000006744: 7E0802FF 43700000
	v_mul_f32_e32 v147, v4, v147                               // 00000000674C: 0B272704
	v_mov_b32_e32 v4, v147                                     // 000000006750: 7E080393
	v_mov_b32_e32 v5, v4                                       // 000000006754: 7E0A0304
	v_pk_mul_f32 v[92:93], v[4:5], v[92:93]                    // 000000006758: D3B1405C 1802B904
	v_pk_mul_f32 v[94:95], v[4:5], v[94:95]                    // 000000006760: D3B1405E 1802BD04
	v_cvt_pk_fp8_f32 v92, v92, v93                             // 000000006768: D2A2005C 0002BB5C
	v_cvt_pk_fp8_f32 v92, v94, v95 op_sel:[0,0,1]              // 000000006770: D2A2405C 0002BF5E
	v_pk_mul_f32 v[124:125], v[4:5], v[124:125]                // 000000006778: D3B1407C 1802F904
	v_pk_mul_f32 v[126:127], v[4:5], v[126:127]                // 000000006780: D3B1407E 1802FD04
	v_cvt_pk_fp8_f32 v124, v124, v125                          // 000000006788: D2A2007C 0002FB7C
	v_cvt_pk_fp8_f32 v124, v126, v127 op_sel:[0,0,1]           // 000000006790: D2A2407C 0002FF7E
	v_rcp_f32_e32 v147, v147                                   // 000000006798: 7F264593
	v_mov_b32_e32 v148, 0x358637bd                             // 00000000679C: 7F2802FF 358637BD
	v_max3_f32 v148, |v96|, |v97|, v148                        // 0000000067A4: D1D30394 0652C360
	v_max3_f32 v148, |v98|, |v99|, v148                        // 0000000067AC: D1D30394 0652C762
	v_max3_f32 v148, |v128|, |v129|, v148                      // 0000000067B4: D1D30394 06530380
	v_max3_f32 v148, |v130|, |v131|, v148                      // 0000000067BC: D1D30394 06530782
	ds_write_b32 v152, v148                                    // 0000000067C4: D81A0000 00009498
	s_waitcnt lgkmcnt(0)                                       // 0000000067CC: BF8CC07F
	s_barrier                                                  // 0000000067D0: BF8A0000
	ds_read_b32 v4, v153                                       // 0000000067D4: D86C0000 04000099
	ds_read_b32 v5, v153 offset:64                             // 0000000067DC: D86C0040 05000099
	ds_read_b32 v6, v153 offset:128                            // 0000000067E4: D86C0080 06000099
	ds_read_b32 v7, v153 offset:192                            // 0000000067EC: D86C00C0 07000099
	ds_read_b32 v8, v153 offset:256                            // 0000000067F4: D86C0100 08000099
	ds_read_b32 v9, v153 offset:320                            // 0000000067FC: D86C0140 09000099
	ds_read_b32 v10, v153 offset:384                           // 000000006804: D86C0180 0A000099
	ds_read_b32 v11, v153 offset:448                           // 00000000680C: D86C01C0 0B000099
	ds_read_b32 v12, v153 offset:512                           // 000000006814: D86C0200 0C000099
	ds_read_b32 v13, v153 offset:576                           // 00000000681C: D86C0240 0D000099
	ds_read_b32 v14, v153 offset:640                           // 000000006824: D86C0280 0E000099
	ds_read_b32 v15, v153 offset:704                           // 00000000682C: D86C02C0 0F000099
	ds_read_b32 v16, v153 offset:768                           // 000000006834: D86C0300 10000099
	ds_read_b32 v17, v153 offset:832                           // 00000000683C: D86C0340 11000099
	ds_read_b32 v18, v153 offset:896                           // 000000006844: D86C0380 12000099
	ds_read_b32 v19, v153 offset:960                           // 00000000684C: D86C03C0 13000099
	s_waitcnt lgkmcnt(0)                                       // 000000006854: BF8CC07F
	s_barrier                                                  // 000000006858: BF8A0000
	v_max3_f32 v148, |v4|, |v5|, v148                          // 00000000685C: D1D30394 06520B04
	v_max3_f32 v148, |v6|, |v7|, v148                          // 000000006864: D1D30394 06520F06
	v_max3_f32 v148, |v8|, |v9|, v148                          // 00000000686C: D1D30394 06521308
	v_max3_f32 v148, |v10|, |v11|, v148                        // 000000006874: D1D30394 0652170A
	v_max3_f32 v148, |v12|, |v13|, v148                        // 00000000687C: D1D30394 06521B0C
	v_max3_f32 v148, |v14|, |v15|, v148                        // 000000006884: D1D30394 06521F0E
	v_max3_f32 v148, |v16|, |v17|, v148                        // 00000000688C: D1D30394 06522310
	v_max3_f32 v148, |v18|, |v19|, v148                        // 000000006894: D1D30394 06522712
	v_rcp_f32_e32 v148, v148                                   // 00000000689C: 7F284594
	v_mov_b32_e32 v4, 0x43700000                               // 0000000068A0: 7E0802FF 43700000
	v_mul_f32_e32 v148, v4, v148                               // 0000000068A8: 0B292904
	v_mov_b32_e32 v4, v148                                     // 0000000068AC: 7E080394
	v_mov_b32_e32 v5, v4                                       // 0000000068B0: 7E0A0304
	v_pk_mul_f32 v[96:97], v[4:5], v[96:97]                    // 0000000068B4: D3B14060 1802C104
	v_pk_mul_f32 v[98:99], v[4:5], v[98:99]                    // 0000000068BC: D3B14062 1802C504
	v_cvt_pk_fp8_f32 v96, v96, v97                             // 0000000068C4: D2A20060 0002C360
	v_cvt_pk_fp8_f32 v96, v98, v99 op_sel:[0,0,1]              // 0000000068CC: D2A24060 0002C762
	v_pk_mul_f32 v[128:129], v[4:5], v[128:129]                // 0000000068D4: D3B14080 18030104
	v_pk_mul_f32 v[130:131], v[4:5], v[130:131]                // 0000000068DC: D3B14082 18030504
	v_cvt_pk_fp8_f32 v128, v128, v129                          // 0000000068E4: D2A20080 00030380
	v_cvt_pk_fp8_f32 v128, v130, v131 op_sel:[0,0,1]           // 0000000068EC: D2A24080 00030782
	v_rcp_f32_e32 v148, v148                                   // 0000000068F4: 7F284594
	v_mov_b32_e32 v149, 0x358637bd                             // 0000000068F8: 7F2A02FF 358637BD
	v_max3_f32 v149, |v100|, |v101|, v149                      // 000000006900: D1D30395 0656CB64
	v_max3_f32 v149, |v102|, |v103|, v149                      // 000000006908: D1D30395 0656CF66
	v_max3_f32 v149, |v132|, |v133|, v149                      // 000000006910: D1D30395 06570B84
	v_max3_f32 v149, |v134|, |v135|, v149                      // 000000006918: D1D30395 06570F86
	ds_write_b32 v152, v149                                    // 000000006920: D81A0000 00009598
	s_waitcnt lgkmcnt(0)                                       // 000000006928: BF8CC07F
	s_barrier                                                  // 00000000692C: BF8A0000
	ds_read_b32 v4, v153                                       // 000000006930: D86C0000 04000099
	ds_read_b32 v5, v153 offset:64                             // 000000006938: D86C0040 05000099
	ds_read_b32 v6, v153 offset:128                            // 000000006940: D86C0080 06000099
	ds_read_b32 v7, v153 offset:192                            // 000000006948: D86C00C0 07000099
	ds_read_b32 v8, v153 offset:256                            // 000000006950: D86C0100 08000099
	ds_read_b32 v9, v153 offset:320                            // 000000006958: D86C0140 09000099
	ds_read_b32 v10, v153 offset:384                           // 000000006960: D86C0180 0A000099
	ds_read_b32 v11, v153 offset:448                           // 000000006968: D86C01C0 0B000099
	ds_read_b32 v12, v153 offset:512                           // 000000006970: D86C0200 0C000099
	ds_read_b32 v13, v153 offset:576                           // 000000006978: D86C0240 0D000099
	ds_read_b32 v14, v153 offset:640                           // 000000006980: D86C0280 0E000099
	ds_read_b32 v15, v153 offset:704                           // 000000006988: D86C02C0 0F000099
	ds_read_b32 v16, v153 offset:768                           // 000000006990: D86C0300 10000099
	ds_read_b32 v17, v153 offset:832                           // 000000006998: D86C0340 11000099
	ds_read_b32 v18, v153 offset:896                           // 0000000069A0: D86C0380 12000099
	ds_read_b32 v19, v153 offset:960                           // 0000000069A8: D86C03C0 13000099
	s_waitcnt lgkmcnt(0)                                       // 0000000069B0: BF8CC07F
	s_barrier                                                  // 0000000069B4: BF8A0000
	v_max3_f32 v149, |v4|, |v5|, v149                          // 0000000069B8: D1D30395 06560B04
	v_max3_f32 v149, |v6|, |v7|, v149                          // 0000000069C0: D1D30395 06560F06
	v_max3_f32 v149, |v8|, |v9|, v149                          // 0000000069C8: D1D30395 06561308
	v_max3_f32 v149, |v10|, |v11|, v149                        // 0000000069D0: D1D30395 0656170A
	v_max3_f32 v149, |v12|, |v13|, v149                        // 0000000069D8: D1D30395 06561B0C
	v_max3_f32 v149, |v14|, |v15|, v149                        // 0000000069E0: D1D30395 06561F0E
	v_max3_f32 v149, |v16|, |v17|, v149                        // 0000000069E8: D1D30395 06562310
	v_max3_f32 v149, |v18|, |v19|, v149                        // 0000000069F0: D1D30395 06562712
	v_rcp_f32_e32 v149, v149                                   // 0000000069F8: 7F2A4595
	v_mov_b32_e32 v4, 0x43700000                               // 0000000069FC: 7E0802FF 43700000
	v_mul_f32_e32 v149, v4, v149                               // 000000006A04: 0B2B2B04
	v_mov_b32_e32 v4, v149                                     // 000000006A08: 7E080395
	v_mov_b32_e32 v5, v4                                       // 000000006A0C: 7E0A0304
	v_pk_mul_f32 v[100:101], v[4:5], v[100:101]                // 000000006A10: D3B14064 1802C904
	v_pk_mul_f32 v[102:103], v[4:5], v[102:103]                // 000000006A18: D3B14066 1802CD04
	v_cvt_pk_fp8_f32 v100, v100, v101                          // 000000006A20: D2A20064 0002CB64
	v_cvt_pk_fp8_f32 v100, v102, v103 op_sel:[0,0,1]           // 000000006A28: D2A24064 0002CF66
	v_pk_mul_f32 v[132:133], v[4:5], v[132:133]                // 000000006A30: D3B14084 18030904
	v_pk_mul_f32 v[134:135], v[4:5], v[134:135]                // 000000006A38: D3B14086 18030D04
	v_cvt_pk_fp8_f32 v132, v132, v133                          // 000000006A40: D2A20084 00030B84
	v_cvt_pk_fp8_f32 v132, v134, v135 op_sel:[0,0,1]           // 000000006A48: D2A24084 00030F86
	v_rcp_f32_e32 v149, v149                                   // 000000006A50: 7F2A4595
	v_mov_b32_e32 v150, 0x358637bd                             // 000000006A54: 7F2C02FF 358637BD
	v_max3_f32 v150, |v104|, |v105|, v150                      // 000000006A5C: D1D30396 065AD368
	v_max3_f32 v150, |v106|, |v107|, v150                      // 000000006A64: D1D30396 065AD76A
	v_max3_f32 v150, |v136|, |v137|, v150                      // 000000006A6C: D1D30396 065B1388
	v_max3_f32 v150, |v138|, |v139|, v150                      // 000000006A74: D1D30396 065B178A
	ds_write_b32 v152, v150                                    // 000000006A7C: D81A0000 00009698
	s_waitcnt lgkmcnt(0)                                       // 000000006A84: BF8CC07F
	s_barrier                                                  // 000000006A88: BF8A0000
	ds_read_b32 v4, v153                                       // 000000006A8C: D86C0000 04000099
	ds_read_b32 v5, v153 offset:64                             // 000000006A94: D86C0040 05000099
	ds_read_b32 v6, v153 offset:128                            // 000000006A9C: D86C0080 06000099
	ds_read_b32 v7, v153 offset:192                            // 000000006AA4: D86C00C0 07000099
	ds_read_b32 v8, v153 offset:256                            // 000000006AAC: D86C0100 08000099
	ds_read_b32 v9, v153 offset:320                            // 000000006AB4: D86C0140 09000099
	ds_read_b32 v10, v153 offset:384                           // 000000006ABC: D86C0180 0A000099
	ds_read_b32 v11, v153 offset:448                           // 000000006AC4: D86C01C0 0B000099
	ds_read_b32 v12, v153 offset:512                           // 000000006ACC: D86C0200 0C000099
	ds_read_b32 v13, v153 offset:576                           // 000000006AD4: D86C0240 0D000099
	ds_read_b32 v14, v153 offset:640                           // 000000006ADC: D86C0280 0E000099
	ds_read_b32 v15, v153 offset:704                           // 000000006AE4: D86C02C0 0F000099
	ds_read_b32 v16, v153 offset:768                           // 000000006AEC: D86C0300 10000099
	ds_read_b32 v17, v153 offset:832                           // 000000006AF4: D86C0340 11000099
	ds_read_b32 v18, v153 offset:896                           // 000000006AFC: D86C0380 12000099
	ds_read_b32 v19, v153 offset:960                           // 000000006B04: D86C03C0 13000099
	s_waitcnt lgkmcnt(0)                                       // 000000006B0C: BF8CC07F
	s_barrier                                                  // 000000006B10: BF8A0000
	v_max3_f32 v150, |v4|, |v5|, v150                          // 000000006B14: D1D30396 065A0B04
	v_max3_f32 v150, |v6|, |v7|, v150                          // 000000006B1C: D1D30396 065A0F06
	v_max3_f32 v150, |v8|, |v9|, v150                          // 000000006B24: D1D30396 065A1308
	v_max3_f32 v150, |v10|, |v11|, v150                        // 000000006B2C: D1D30396 065A170A
	v_max3_f32 v150, |v12|, |v13|, v150                        // 000000006B34: D1D30396 065A1B0C
	v_max3_f32 v150, |v14|, |v15|, v150                        // 000000006B3C: D1D30396 065A1F0E
	v_max3_f32 v150, |v16|, |v17|, v150                        // 000000006B44: D1D30396 065A2310
	v_max3_f32 v150, |v18|, |v19|, v150                        // 000000006B4C: D1D30396 065A2712
	v_rcp_f32_e32 v150, v150                                   // 000000006B54: 7F2C4596
	v_mov_b32_e32 v4, 0x43700000                               // 000000006B58: 7E0802FF 43700000
	v_mul_f32_e32 v150, v4, v150                               // 000000006B60: 0B2D2D04
	v_mov_b32_e32 v4, v150                                     // 000000006B64: 7E080396
	v_mov_b32_e32 v5, v4                                       // 000000006B68: 7E0A0304
	v_pk_mul_f32 v[104:105], v[4:5], v[104:105]                // 000000006B6C: D3B14068 1802D104
	v_pk_mul_f32 v[106:107], v[4:5], v[106:107]                // 000000006B74: D3B1406A 1802D504
	v_cvt_pk_fp8_f32 v104, v104, v105                          // 000000006B7C: D2A20068 0002D368
	v_cvt_pk_fp8_f32 v104, v106, v107 op_sel:[0,0,1]           // 000000006B84: D2A24068 0002D76A
	v_pk_mul_f32 v[136:137], v[4:5], v[136:137]                // 000000006B8C: D3B14088 18031104
	v_pk_mul_f32 v[138:139], v[4:5], v[138:139]                // 000000006B94: D3B1408A 18031504
	v_cvt_pk_fp8_f32 v136, v136, v137                          // 000000006B9C: D2A20088 00031388
	v_cvt_pk_fp8_f32 v136, v138, v139 op_sel:[0,0,1]           // 000000006BA4: D2A24088 0003178A
	v_rcp_f32_e32 v150, v150                                   // 000000006BAC: 7F2C4596
	v_mov_b32_e32 v151, 0x358637bd                             // 000000006BB0: 7F2E02FF 358637BD
	v_max3_f32 v151, |v108|, |v109|, v151                      // 000000006BB8: D1D30397 065EDB6C
	v_max3_f32 v151, |v110|, |v111|, v151                      // 000000006BC0: D1D30397 065EDF6E
	v_max3_f32 v151, |v140|, |v141|, v151                      // 000000006BC8: D1D30397 065F1B8C
	v_max3_f32 v151, |v142|, |v143|, v151                      // 000000006BD0: D1D30397 065F1F8E
	ds_write_b32 v152, v151                                    // 000000006BD8: D81A0000 00009798
	s_waitcnt lgkmcnt(0)                                       // 000000006BE0: BF8CC07F
	s_barrier                                                  // 000000006BE4: BF8A0000
	ds_read_b32 v4, v153                                       // 000000006BE8: D86C0000 04000099
	ds_read_b32 v5, v153 offset:64                             // 000000006BF0: D86C0040 05000099
	ds_read_b32 v6, v153 offset:128                            // 000000006BF8: D86C0080 06000099
	ds_read_b32 v7, v153 offset:192                            // 000000006C00: D86C00C0 07000099
	ds_read_b32 v8, v153 offset:256                            // 000000006C08: D86C0100 08000099
	ds_read_b32 v9, v153 offset:320                            // 000000006C10: D86C0140 09000099
	ds_read_b32 v10, v153 offset:384                           // 000000006C18: D86C0180 0A000099
	ds_read_b32 v11, v153 offset:448                           // 000000006C20: D86C01C0 0B000099
	ds_read_b32 v12, v153 offset:512                           // 000000006C28: D86C0200 0C000099
	ds_read_b32 v13, v153 offset:576                           // 000000006C30: D86C0240 0D000099
	ds_read_b32 v14, v153 offset:640                           // 000000006C38: D86C0280 0E000099
	ds_read_b32 v15, v153 offset:704                           // 000000006C40: D86C02C0 0F000099
	ds_read_b32 v16, v153 offset:768                           // 000000006C48: D86C0300 10000099
	ds_read_b32 v17, v153 offset:832                           // 000000006C50: D86C0340 11000099
	ds_read_b32 v18, v153 offset:896                           // 000000006C58: D86C0380 12000099
	ds_read_b32 v19, v153 offset:960                           // 000000006C60: D86C03C0 13000099
	s_waitcnt lgkmcnt(0)                                       // 000000006C68: BF8CC07F
	s_barrier                                                  // 000000006C6C: BF8A0000
	v_max3_f32 v151, |v4|, |v5|, v151                          // 000000006C70: D1D30397 065E0B04
	v_max3_f32 v151, |v6|, |v7|, v151                          // 000000006C78: D1D30397 065E0F06
	v_max3_f32 v151, |v8|, |v9|, v151                          // 000000006C80: D1D30397 065E1308
	v_max3_f32 v151, |v10|, |v11|, v151                        // 000000006C88: D1D30397 065E170A
	v_max3_f32 v151, |v12|, |v13|, v151                        // 000000006C90: D1D30397 065E1B0C
	v_max3_f32 v151, |v14|, |v15|, v151                        // 000000006C98: D1D30397 065E1F0E
	v_max3_f32 v151, |v16|, |v17|, v151                        // 000000006CA0: D1D30397 065E2310
	v_max3_f32 v151, |v18|, |v19|, v151                        // 000000006CA8: D1D30397 065E2712
	v_rcp_f32_e32 v151, v151                                   // 000000006CB0: 7F2E4597
	v_mov_b32_e32 v4, 0x43700000                               // 000000006CB4: 7E0802FF 43700000
	v_mul_f32_e32 v151, v4, v151                               // 000000006CBC: 0B2F2F04
	v_mov_b32_e32 v4, v151                                     // 000000006CC0: 7E080397
	v_mov_b32_e32 v5, v4                                       // 000000006CC4: 7E0A0304
	v_pk_mul_f32 v[108:109], v[4:5], v[108:109]                // 000000006CC8: D3B1406C 1802D904
	v_pk_mul_f32 v[110:111], v[4:5], v[110:111]                // 000000006CD0: D3B1406E 1802DD04
	v_cvt_pk_fp8_f32 v108, v108, v109                          // 000000006CD8: D2A2006C 0002DB6C
	v_cvt_pk_fp8_f32 v108, v110, v111 op_sel:[0,0,1]           // 000000006CE0: D2A2406C 0002DF6E
	v_pk_mul_f32 v[140:141], v[4:5], v[140:141]                // 000000006CE8: D3B1408C 18031904
	v_pk_mul_f32 v[142:143], v[4:5], v[142:143]                // 000000006CF0: D3B1408E 18031D04
	v_cvt_pk_fp8_f32 v140, v140, v141                          // 000000006CF8: D2A2008C 00031B8C
	v_cvt_pk_fp8_f32 v140, v142, v143 op_sel:[0,0,1]           // 000000006D00: D2A2408C 00031F8E
	v_rcp_f32_e32 v151, v151                                   // 000000006D08: 7F2E4597
	v_lshrrev_b32_e32 v4, 5, v0                                // 000000006D0C: 20080085
	v_mul_lo_u32 v20, 34, v4                                   // 000000006D10: D2850014 000208A2
	v_and_b32_e32 v4, 31, v0                                   // 000000006D18: 2608009F
	v_lshrrev_b32_e32 v5, 4, v4                                // 000000006D1C: 200A0884
	v_add_u32_e32 v20, v5, v20                                 // 000000006D20: 68282905
	v_and_b32_e32 v4, 15, v0                                   // 000000006D24: 2608008F
	v_mul_lo_u32 v5, 2, v4                                     // 000000006D28: D2850005 00020882
	v_add_u32_e32 v20, v5, v20                                 // 000000006D30: 68282905
	s_mul_i32 s60, s7, 0x44                                    // 000000006D34: 923CFF07 00000044
	v_add_u32_e32 v20, s60, v20                                // 000000006D3C: 6828283C
	v_lshlrev_b32_e32 v20, 2, v20                              // 000000006D40: 24282882
	ds_write_b32 v20, v80                                      // 000000006D44: D81A0000 00005014
	ds_write_b32 v20, v84 offset:2176                          // 000000006D4C: D81A0880 00005414
	ds_write_b32 v20, v88 offset:4352                          // 000000006D54: D81A1100 00005814
	ds_write_b32 v20, v92 offset:6528                          // 000000006D5C: D81A1980 00005C14
	ds_write_b32 v20, v96 offset:8704                          // 000000006D64: D81A2200 00006014
	ds_write_b32 v20, v100 offset:10880                        // 000000006D6C: D81A2A80 00006414
	ds_write_b32 v20, v104 offset:13056                        // 000000006D74: D81A3300 00006814
	ds_write_b32 v20, v108 offset:15232                        // 000000006D7C: D81A3B80 00006C14
	ds_write_b32 v20, v112 offset:1088                         // 000000006D84: D81A0440 00007014
	ds_write_b32 v20, v116 offset:3264                         // 000000006D8C: D81A0CC0 00007414
	ds_write_b32 v20, v120 offset:5440                         // 000000006D94: D81A1540 00007814
	ds_write_b32 v20, v124 offset:7616                         // 000000006D9C: D81A1DC0 00007C14
	ds_write_b32 v20, v128 offset:9792                         // 000000006DA4: D81A2640 00008014
	ds_write_b32 v20, v132 offset:11968                        // 000000006DAC: D81A2EC0 00008414
	ds_write_b32 v20, v136 offset:14144                        // 000000006DB4: D81A3740 00008814
	ds_write_b32 v20, v140 offset:16320                        // 000000006DBC: D81A3FC0 00008C14
	v_lshrrev_b32_e32 v4, 5, v0                                // 000000006DC4: 20080085
	v_xor_b32_e32 v5, 1, v4                                    // 000000006DC8: 2A0A0881
	s_mul_i32 s60, s65, 1                                      // 000000006DCC: 923C8141
	s_cmp_eq_u32 s88, 0                                        // 000000006DD0: BF068058
	s_cselect_b32 s61, 1, 8                                    // 000000006DD4: 853D8881
	s_mul_i32 s60, s61, s60                                    // 000000006DD8: 923C3C3D
	v_readlane_b32 s82, v3, 0                                  // 000000006DDC: D2890052 00010103
	s_lshr_b32 s61, s82, 24                                    // 000000006DE4: 8F3D9852
	s_and_b32 s82, s82, 0xffffff                               // 000000006DE8: 8652FF52 00FFFFFF
	s_mul_i32 s82, s82, s71                                    // 000000006DF0: 92524752
	s_mul_i32 s61, s60, s61                                    // 000000006DF4: 923D3D3C
	s_add_u32 s82, s82, s61                                    // 000000006DF8: 80523D52
	v_mul_lo_u32 v6, v5, s82                                   // 000000006DFC: D2850006 0000A505
	v_readlane_b32 s82, v3, 1                                  // 000000006E04: D2890052 00010303
	s_lshr_b32 s61, s82, 24                                    // 000000006E0C: 8F3D9852
	s_and_b32 s82, s82, 0xffffff                               // 000000006E10: 8652FF52 00FFFFFF
	s_mul_i32 s82, s82, s71                                    // 000000006E18: 92524752
	s_mul_i32 s61, s60, s61                                    // 000000006E1C: 923D3D3C
	s_add_u32 s82, s82, s61                                    // 000000006E20: 80523D52
	v_mul_lo_u32 v7, v4, s82                                   // 000000006E24: D2850007 0000A504
	v_add_u32_e32 v60, v6, v7                                  // 000000006E2C: 68780F06
	v_readlane_b32 s82, v3, 2                                  // 000000006E30: D2890052 00010503
	s_lshr_b32 s61, s82, 24                                    // 000000006E38: 8F3D9852
	s_and_b32 s82, s82, 0xffffff                               // 000000006E3C: 8652FF52 00FFFFFF
	s_mul_i32 s82, s82, s71                                    // 000000006E44: 92524752
	s_mul_i32 s61, s60, s61                                    // 000000006E48: 923D3D3C
	s_add_u32 s82, s82, s61                                    // 000000006E4C: 80523D52
	v_mul_lo_u32 v6, v5, s82                                   // 000000006E50: D2850006 0000A505
	v_readlane_b32 s82, v3, 3                                  // 000000006E58: D2890052 00010703
	s_lshr_b32 s61, s82, 24                                    // 000000006E60: 8F3D9852
	s_and_b32 s82, s82, 0xffffff                               // 000000006E64: 8652FF52 00FFFFFF
	s_mul_i32 s82, s82, s71                                    // 000000006E6C: 92524752
	s_mul_i32 s61, s60, s61                                    // 000000006E70: 923D3D3C
	s_add_u32 s82, s82, s61                                    // 000000006E74: 80523D52
	v_mul_lo_u32 v7, v4, s82                                   // 000000006E78: D2850007 0000A504
	v_add_u32_e32 v61, v6, v7                                  // 000000006E80: 687A0F06
	v_readlane_b32 s82, v3, 4                                  // 000000006E84: D2890052 00010903
	s_lshr_b32 s61, s82, 24                                    // 000000006E8C: 8F3D9852
	s_and_b32 s82, s82, 0xffffff                               // 000000006E90: 8652FF52 00FFFFFF
	s_mul_i32 s82, s82, s71                                    // 000000006E98: 92524752
	s_mul_i32 s61, s60, s61                                    // 000000006E9C: 923D3D3C
	s_add_u32 s82, s82, s61                                    // 000000006EA0: 80523D52
	v_mul_lo_u32 v6, v5, s82                                   // 000000006EA4: D2850006 0000A505
	v_readlane_b32 s82, v3, 5                                  // 000000006EAC: D2890052 00010B03
	s_lshr_b32 s61, s82, 24                                    // 000000006EB4: 8F3D9852
	s_and_b32 s82, s82, 0xffffff                               // 000000006EB8: 8652FF52 00FFFFFF
	s_mul_i32 s82, s82, s71                                    // 000000006EC0: 92524752
	s_mul_i32 s61, s60, s61                                    // 000000006EC4: 923D3D3C
	s_add_u32 s82, s82, s61                                    // 000000006EC8: 80523D52
	v_mul_lo_u32 v7, v4, s82                                   // 000000006ECC: D2850007 0000A504
	v_add_u32_e32 v62, v6, v7                                  // 000000006ED4: 687C0F06
	v_readlane_b32 s82, v3, 6                                  // 000000006ED8: D2890052 00010D03
	s_lshr_b32 s61, s82, 24                                    // 000000006EE0: 8F3D9852
	s_and_b32 s82, s82, 0xffffff                               // 000000006EE4: 8652FF52 00FFFFFF
	s_mul_i32 s82, s82, s71                                    // 000000006EEC: 92524752
	s_mul_i32 s61, s60, s61                                    // 000000006EF0: 923D3D3C
	s_add_u32 s82, s82, s61                                    // 000000006EF4: 80523D52
	v_mul_lo_u32 v6, v5, s82                                   // 000000006EF8: D2850006 0000A505
	v_readlane_b32 s82, v3, 7                                  // 000000006F00: D2890052 00010F03
	s_lshr_b32 s61, s82, 24                                    // 000000006F08: 8F3D9852
	s_and_b32 s82, s82, 0xffffff                               // 000000006F0C: 8652FF52 00FFFFFF
	s_mul_i32 s82, s82, s71                                    // 000000006F14: 92524752
	s_mul_i32 s61, s60, s61                                    // 000000006F18: 923D3D3C
	s_add_u32 s82, s82, s61                                    // 000000006F1C: 80523D52
	v_mul_lo_u32 v7, v4, s82                                   // 000000006F20: D2850007 0000A504
	v_add_u32_e32 v63, v6, v7                                  // 000000006F28: 687E0F06
	v_readlane_b32 s82, v3, 8                                  // 000000006F2C: D2890052 00011103
	s_lshr_b32 s61, s82, 24                                    // 000000006F34: 8F3D9852
	s_and_b32 s82, s82, 0xffffff                               // 000000006F38: 8652FF52 00FFFFFF
	s_mul_i32 s82, s82, s71                                    // 000000006F40: 92524752
	s_mul_i32 s61, s60, s61                                    // 000000006F44: 923D3D3C
	s_add_u32 s82, s82, s61                                    // 000000006F48: 80523D52
	v_mul_lo_u32 v6, v5, s82                                   // 000000006F4C: D2850006 0000A505
	v_readlane_b32 s82, v3, 9                                  // 000000006F54: D2890052 00011303
	s_lshr_b32 s61, s82, 24                                    // 000000006F5C: 8F3D9852
	s_and_b32 s82, s82, 0xffffff                               // 000000006F60: 8652FF52 00FFFFFF
	s_mul_i32 s82, s82, s71                                    // 000000006F68: 92524752
	s_mul_i32 s61, s60, s61                                    // 000000006F6C: 923D3D3C
	s_add_u32 s82, s82, s61                                    // 000000006F70: 80523D52
	v_mul_lo_u32 v7, v4, s82                                   // 000000006F74: D2850007 0000A504
	v_add_u32_e32 v64, v6, v7                                  // 000000006F7C: 68800F06
	v_readlane_b32 s82, v3, 10                                 // 000000006F80: D2890052 00011503
	s_lshr_b32 s61, s82, 24                                    // 000000006F88: 8F3D9852
	s_and_b32 s82, s82, 0xffffff                               // 000000006F8C: 8652FF52 00FFFFFF
	s_mul_i32 s82, s82, s71                                    // 000000006F94: 92524752
	s_mul_i32 s61, s60, s61                                    // 000000006F98: 923D3D3C
	s_add_u32 s82, s82, s61                                    // 000000006F9C: 80523D52
	v_mul_lo_u32 v6, v5, s82                                   // 000000006FA0: D2850006 0000A505
	v_readlane_b32 s82, v3, 11                                 // 000000006FA8: D2890052 00011703
	s_lshr_b32 s61, s82, 24                                    // 000000006FB0: 8F3D9852
	s_and_b32 s82, s82, 0xffffff                               // 000000006FB4: 8652FF52 00FFFFFF
	s_mul_i32 s82, s82, s71                                    // 000000006FBC: 92524752
	s_mul_i32 s61, s60, s61                                    // 000000006FC0: 923D3D3C
	s_add_u32 s82, s82, s61                                    // 000000006FC4: 80523D52
	v_mul_lo_u32 v7, v4, s82                                   // 000000006FC8: D2850007 0000A504
	v_add_u32_e32 v65, v6, v7                                  // 000000006FD0: 68820F06
	v_readlane_b32 s82, v3, 12                                 // 000000006FD4: D2890052 00011903
	s_lshr_b32 s61, s82, 24                                    // 000000006FDC: 8F3D9852
	s_and_b32 s82, s82, 0xffffff                               // 000000006FE0: 8652FF52 00FFFFFF
	s_mul_i32 s82, s82, s71                                    // 000000006FE8: 92524752
	s_mul_i32 s61, s60, s61                                    // 000000006FEC: 923D3D3C
	s_add_u32 s82, s82, s61                                    // 000000006FF0: 80523D52
	v_mul_lo_u32 v6, v5, s82                                   // 000000006FF4: D2850006 0000A505
	v_readlane_b32 s82, v3, 13                                 // 000000006FFC: D2890052 00011B03
	s_lshr_b32 s61, s82, 24                                    // 000000007004: 8F3D9852
	s_and_b32 s82, s82, 0xffffff                               // 000000007008: 8652FF52 00FFFFFF
	s_mul_i32 s82, s82, s71                                    // 000000007010: 92524752
	s_mul_i32 s61, s60, s61                                    // 000000007014: 923D3D3C
	s_add_u32 s82, s82, s61                                    // 000000007018: 80523D52
	v_mul_lo_u32 v7, v4, s82                                   // 00000000701C: D2850007 0000A504
	v_add_u32_e32 v66, v6, v7                                  // 000000007024: 68840F06
	v_readlane_b32 s82, v3, 14                                 // 000000007028: D2890052 00011D03
	s_lshr_b32 s61, s82, 24                                    // 000000007030: 8F3D9852
	s_and_b32 s82, s82, 0xffffff                               // 000000007034: 8652FF52 00FFFFFF
	s_mul_i32 s82, s82, s71                                    // 00000000703C: 92524752
	s_mul_i32 s61, s60, s61                                    // 000000007040: 923D3D3C
	s_add_u32 s82, s82, s61                                    // 000000007044: 80523D52
	v_mul_lo_u32 v6, v5, s82                                   // 000000007048: D2850006 0000A505
	v_readlane_b32 s82, v3, 15                                 // 000000007050: D2890052 00011F03
	s_lshr_b32 s61, s82, 24                                    // 000000007058: 8F3D9852
	s_and_b32 s82, s82, 0xffffff                               // 00000000705C: 8652FF52 00FFFFFF
	s_mul_i32 s82, s82, s71                                    // 000000007064: 92524752
	s_mul_i32 s61, s60, s61                                    // 000000007068: 923D3D3C
	s_add_u32 s82, s82, s61                                    // 00000000706C: 80523D52
	v_mul_lo_u32 v7, v4, s82                                   // 000000007070: D2850007 0000A504
	v_add_u32_e32 v67, v6, v7                                  // 000000007078: 68860F06
	v_readlane_b32 s82, v3, 16                                 // 00000000707C: D2890052 00012103
	s_lshr_b32 s61, s82, 24                                    // 000000007084: 8F3D9852
	s_and_b32 s82, s82, 0xffffff                               // 000000007088: 8652FF52 00FFFFFF
	s_mul_i32 s82, s82, s71                                    // 000000007090: 92524752
	s_mul_i32 s61, s60, s61                                    // 000000007094: 923D3D3C
	s_add_u32 s82, s82, s61                                    // 000000007098: 80523D52
	v_mul_lo_u32 v6, v5, s82                                   // 00000000709C: D2850006 0000A505
	v_readlane_b32 s82, v3, 17                                 // 0000000070A4: D2890052 00012303
	s_lshr_b32 s61, s82, 24                                    // 0000000070AC: 8F3D9852
	s_and_b32 s82, s82, 0xffffff                               // 0000000070B0: 8652FF52 00FFFFFF
	s_mul_i32 s82, s82, s71                                    // 0000000070B8: 92524752
	s_mul_i32 s61, s60, s61                                    // 0000000070BC: 923D3D3C
	s_add_u32 s82, s82, s61                                    // 0000000070C0: 80523D52
	v_mul_lo_u32 v7, v4, s82                                   // 0000000070C4: D2850007 0000A504
	v_add_u32_e32 v68, v6, v7                                  // 0000000070CC: 68880F06
	v_readlane_b32 s82, v3, 18                                 // 0000000070D0: D2890052 00012503
	s_lshr_b32 s61, s82, 24                                    // 0000000070D8: 8F3D9852
	s_and_b32 s82, s82, 0xffffff                               // 0000000070DC: 8652FF52 00FFFFFF
	s_mul_i32 s82, s82, s71                                    // 0000000070E4: 92524752
	s_mul_i32 s61, s60, s61                                    // 0000000070E8: 923D3D3C
	s_add_u32 s82, s82, s61                                    // 0000000070EC: 80523D52
	v_mul_lo_u32 v6, v5, s82                                   // 0000000070F0: D2850006 0000A505
	v_readlane_b32 s82, v3, 19                                 // 0000000070F8: D2890052 00012703
	s_lshr_b32 s61, s82, 24                                    // 000000007100: 8F3D9852
	s_and_b32 s82, s82, 0xffffff                               // 000000007104: 8652FF52 00FFFFFF
	s_mul_i32 s82, s82, s71                                    // 00000000710C: 92524752
	s_mul_i32 s61, s60, s61                                    // 000000007110: 923D3D3C
	s_add_u32 s82, s82, s61                                    // 000000007114: 80523D52
	v_mul_lo_u32 v7, v4, s82                                   // 000000007118: D2850007 0000A504
	v_add_u32_e32 v69, v6, v7                                  // 000000007120: 688A0F06
	v_readlane_b32 s82, v3, 20                                 // 000000007124: D2890052 00012903
	s_lshr_b32 s61, s82, 24                                    // 00000000712C: 8F3D9852
	s_and_b32 s82, s82, 0xffffff                               // 000000007130: 8652FF52 00FFFFFF
	s_mul_i32 s82, s82, s71                                    // 000000007138: 92524752
	s_mul_i32 s61, s60, s61                                    // 00000000713C: 923D3D3C
	s_add_u32 s82, s82, s61                                    // 000000007140: 80523D52
	v_mul_lo_u32 v6, v5, s82                                   // 000000007144: D2850006 0000A505
	v_readlane_b32 s82, v3, 21                                 // 00000000714C: D2890052 00012B03
	s_lshr_b32 s61, s82, 24                                    // 000000007154: 8F3D9852
	s_and_b32 s82, s82, 0xffffff                               // 000000007158: 8652FF52 00FFFFFF
	s_mul_i32 s82, s82, s71                                    // 000000007160: 92524752
	s_mul_i32 s61, s60, s61                                    // 000000007164: 923D3D3C
	s_add_u32 s82, s82, s61                                    // 000000007168: 80523D52
	v_mul_lo_u32 v7, v4, s82                                   // 00000000716C: D2850007 0000A504
	v_add_u32_e32 v70, v6, v7                                  // 000000007174: 688C0F06
	v_readlane_b32 s82, v3, 22                                 // 000000007178: D2890052 00012D03
	s_lshr_b32 s61, s82, 24                                    // 000000007180: 8F3D9852
	s_and_b32 s82, s82, 0xffffff                               // 000000007184: 8652FF52 00FFFFFF
	s_mul_i32 s82, s82, s71                                    // 00000000718C: 92524752
	s_mul_i32 s61, s60, s61                                    // 000000007190: 923D3D3C
	s_add_u32 s82, s82, s61                                    // 000000007194: 80523D52
	v_mul_lo_u32 v6, v5, s82                                   // 000000007198: D2850006 0000A505
	v_readlane_b32 s82, v3, 23                                 // 0000000071A0: D2890052 00012F03
	s_lshr_b32 s61, s82, 24                                    // 0000000071A8: 8F3D9852
	s_and_b32 s82, s82, 0xffffff                               // 0000000071AC: 8652FF52 00FFFFFF
	s_mul_i32 s82, s82, s71                                    // 0000000071B4: 92524752
	s_mul_i32 s61, s60, s61                                    // 0000000071B8: 923D3D3C
	s_add_u32 s82, s82, s61                                    // 0000000071BC: 80523D52
	v_mul_lo_u32 v7, v4, s82                                   // 0000000071C0: D2850007 0000A504
	v_add_u32_e32 v71, v6, v7                                  // 0000000071C8: 688E0F06
	v_readlane_b32 s82, v3, 24                                 // 0000000071CC: D2890052 00013103
	s_lshr_b32 s61, s82, 24                                    // 0000000071D4: 8F3D9852
	s_and_b32 s82, s82, 0xffffff                               // 0000000071D8: 8652FF52 00FFFFFF
	s_mul_i32 s82, s82, s71                                    // 0000000071E0: 92524752
	s_mul_i32 s61, s60, s61                                    // 0000000071E4: 923D3D3C
	s_add_u32 s82, s82, s61                                    // 0000000071E8: 80523D52
	v_mul_lo_u32 v6, v5, s82                                   // 0000000071EC: D2850006 0000A505
	v_readlane_b32 s82, v3, 25                                 // 0000000071F4: D2890052 00013303
	s_lshr_b32 s61, s82, 24                                    // 0000000071FC: 8F3D9852
	s_and_b32 s82, s82, 0xffffff                               // 000000007200: 8652FF52 00FFFFFF
	s_mul_i32 s82, s82, s71                                    // 000000007208: 92524752
	s_mul_i32 s61, s60, s61                                    // 00000000720C: 923D3D3C
	s_add_u32 s82, s82, s61                                    // 000000007210: 80523D52
	v_mul_lo_u32 v7, v4, s82                                   // 000000007214: D2850007 0000A504
	v_add_u32_e32 v72, v6, v7                                  // 00000000721C: 68900F06
	v_readlane_b32 s82, v3, 26                                 // 000000007220: D2890052 00013503
	s_lshr_b32 s61, s82, 24                                    // 000000007228: 8F3D9852
	s_and_b32 s82, s82, 0xffffff                               // 00000000722C: 8652FF52 00FFFFFF
	s_mul_i32 s82, s82, s71                                    // 000000007234: 92524752
	s_mul_i32 s61, s60, s61                                    // 000000007238: 923D3D3C
	s_add_u32 s82, s82, s61                                    // 00000000723C: 80523D52
	v_mul_lo_u32 v6, v5, s82                                   // 000000007240: D2850006 0000A505
	v_readlane_b32 s82, v3, 27                                 // 000000007248: D2890052 00013703
	s_lshr_b32 s61, s82, 24                                    // 000000007250: 8F3D9852
	s_and_b32 s82, s82, 0xffffff                               // 000000007254: 8652FF52 00FFFFFF
	s_mul_i32 s82, s82, s71                                    // 00000000725C: 92524752
	s_mul_i32 s61, s60, s61                                    // 000000007260: 923D3D3C
	s_add_u32 s82, s82, s61                                    // 000000007264: 80523D52
	v_mul_lo_u32 v7, v4, s82                                   // 000000007268: D2850007 0000A504
	v_add_u32_e32 v73, v6, v7                                  // 000000007270: 68920F06
	v_readlane_b32 s82, v3, 28                                 // 000000007274: D2890052 00013903
	s_lshr_b32 s61, s82, 24                                    // 00000000727C: 8F3D9852
	s_and_b32 s82, s82, 0xffffff                               // 000000007280: 8652FF52 00FFFFFF
	s_mul_i32 s82, s82, s71                                    // 000000007288: 92524752
	s_mul_i32 s61, s60, s61                                    // 00000000728C: 923D3D3C
	s_add_u32 s82, s82, s61                                    // 000000007290: 80523D52
	v_mul_lo_u32 v6, v5, s82                                   // 000000007294: D2850006 0000A505
	v_readlane_b32 s82, v3, 29                                 // 00000000729C: D2890052 00013B03
	s_lshr_b32 s61, s82, 24                                    // 0000000072A4: 8F3D9852
	s_and_b32 s82, s82, 0xffffff                               // 0000000072A8: 8652FF52 00FFFFFF
	s_mul_i32 s82, s82, s71                                    // 0000000072B0: 92524752
	s_mul_i32 s61, s60, s61                                    // 0000000072B4: 923D3D3C
	s_add_u32 s82, s82, s61                                    // 0000000072B8: 80523D52
	v_mul_lo_u32 v7, v4, s82                                   // 0000000072BC: D2850007 0000A504
	v_add_u32_e32 v74, v6, v7                                  // 0000000072C4: 68940F06
	v_readlane_b32 s82, v3, 30                                 // 0000000072C8: D2890052 00013D03
	s_lshr_b32 s61, s82, 24                                    // 0000000072D0: 8F3D9852
	s_and_b32 s82, s82, 0xffffff                               // 0000000072D4: 8652FF52 00FFFFFF
	s_mul_i32 s82, s82, s71                                    // 0000000072DC: 92524752
	s_mul_i32 s61, s60, s61                                    // 0000000072E0: 923D3D3C
	s_add_u32 s82, s82, s61                                    // 0000000072E4: 80523D52
	v_mul_lo_u32 v6, v5, s82                                   // 0000000072E8: D2850006 0000A505
	v_readlane_b32 s82, v3, 31                                 // 0000000072F0: D2890052 00013F03
	s_lshr_b32 s61, s82, 24                                    // 0000000072F8: 8F3D9852
	s_and_b32 s82, s82, 0xffffff                               // 0000000072FC: 8652FF52 00FFFFFF
	s_mul_i32 s82, s82, s71                                    // 000000007304: 92524752
	s_mul_i32 s61, s60, s61                                    // 000000007308: 923D3D3C
	s_add_u32 s82, s82, s61                                    // 00000000730C: 80523D52
	v_mul_lo_u32 v7, v4, s82                                   // 000000007310: D2850007 0000A504
	v_add_u32_e32 v75, v6, v7                                  // 000000007318: 68960F06
	v_and_b32_e32 v4, 31, v0                                   // 00000000731C: 2608009F
	v_lshrrev_b32_e32 v4, 1, v4                                // 000000007320: 20080881
	s_cmp_eq_u32 s88, 0                                        // 000000007324: BF068058
	s_cselect_b32 s61, 2, 4                                    // 000000007328: 853D8482
	v_mul_lo_u32 v4, v4, s61                                   // 00000000732C: D2850004 00007B04
	v_and_b32_e64 v5, v0, 1                                    // 000000007334: D1130005 00010300
	v_add_u32_e32 v4, v4, v5                                   // 00000000733C: 68080B04
	v_lshlrev_b32_e32 v4, 2, v4                                // 000000007340: 24080882
	v_add_u32_e32 v60, v60, v4                                 // 000000007344: 6878093C
	v_add_u32_e32 v61, v61, v4                                 // 000000007348: 687A093D
	v_add_u32_e32 v62, v62, v4                                 // 00000000734C: 687C093E
	v_add_u32_e32 v63, v63, v4                                 // 000000007350: 687E093F
	v_add_u32_e32 v64, v64, v4                                 // 000000007354: 68800940
	v_add_u32_e32 v65, v65, v4                                 // 000000007358: 68820941
	v_add_u32_e32 v66, v66, v4                                 // 00000000735C: 68840942
	v_add_u32_e32 v67, v67, v4                                 // 000000007360: 68860943
	v_add_u32_e32 v68, v68, v4                                 // 000000007364: 68880944
	v_add_u32_e32 v69, v69, v4                                 // 000000007368: 688A0945
	v_add_u32_e32 v70, v70, v4                                 // 00000000736C: 688C0946
	v_add_u32_e32 v71, v71, v4                                 // 000000007370: 688E0947
	v_add_u32_e32 v72, v72, v4                                 // 000000007374: 68900948
	v_add_u32_e32 v73, v73, v4                                 // 000000007378: 68920949
	v_add_u32_e32 v74, v74, v4                                 // 00000000737C: 6894094A
	v_add_u32_e32 v75, v75, v4                                 // 000000007380: 6896094B
	s_waitcnt lgkmcnt(0)                                       // 000000007384: BF8CC07F
	s_barrier                                                  // 000000007388: BF8A0000
	ds_read_b32 v80, v21                                       // 00000000738C: D86C0000 50000015
	ds_read_b32 v81, v21 offset:64                             // 000000007394: D86C0040 51000015
	ds_read_b32 v82, v21 offset:2176                           // 00000000739C: D86C0880 52000015
	ds_read_b32 v83, v21 offset:2240                           // 0000000073A4: D86C08C0 53000015
	ds_read_b32 v84, v21 offset:4352                           // 0000000073AC: D86C1100 54000015
	ds_read_b32 v85, v21 offset:4416                           // 0000000073B4: D86C1140 55000015
	ds_read_b32 v86, v21 offset:6528                           // 0000000073BC: D86C1980 56000015
	ds_read_b32 v87, v21 offset:6592                           // 0000000073C4: D86C19C0 57000015
	ds_read_b32 v88, v21 offset:8704                           // 0000000073CC: D86C2200 58000015
	ds_read_b32 v89, v21 offset:8768                           // 0000000073D4: D86C2240 59000015
	ds_read_b32 v90, v21 offset:10880                          // 0000000073DC: D86C2A80 5A000015
	ds_read_b32 v91, v21 offset:10944                          // 0000000073E4: D86C2AC0 5B000015
	ds_read_b32 v92, v21 offset:13056                          // 0000000073EC: D86C3300 5C000015
	ds_read_b32 v93, v21 offset:13120                          // 0000000073F4: D86C3340 5D000015
	ds_read_b32 v94, v21 offset:15232                          // 0000000073FC: D86C3B80 5E000015
	ds_read_b32 v95, v21 offset:15296                          // 000000007404: D86C3BC0 5F000015
	s_waitcnt lgkmcnt(0)                                       // 00000000740C: BF8CC07F
	s_mov_b32 s36, -1                                          // 000000007410: BEA400C1
	s_mov_b32 s37, -1                                          // 000000007414: BEA500C1
	v_mov_b32_e32 v7, 0                                        // 000000007418: 7E0E0280
	s_or_b32 s9, s9, 0x40000                                   // 00000000741C: 8709FF09 00040000
	s_mov_b64 exec, s[36:37]                                   // 000000007424: BEFE0124
	v_mov_b32_e32 v6, v60                                      // 000000007428: 7E0C033C
	s_mov_b64 s[60:61], 0                                      // 00000000742C: BEBC0180
	v_readlane_b32 s82, v3, 0                                  // 000000007430: D2890052 00010103
	s_and_b32 s82, s82, 0xffffff                               // 000000007438: 8652FF52 00FFFFFF
	s_cmp_lt_u32 s82, s66                                      // 000000007440: BF0A4252
	s_cselect_b32 s20, s36, s60                                // 000000007444: 85143C24
	v_readlane_b32 s82, v3, 1                                  // 000000007448: D2890052 00010303
	s_and_b32 s82, s82, 0xffffff                               // 000000007450: 8652FF52 00FFFFFF
	s_cmp_lt_u32 s82, s66                                      // 000000007458: BF0A4252
	s_cselect_b32 s21, s36, s60                                // 00000000745C: 85153C24
	s_mov_b64 exec, s[20:21]                                   // 000000007460: BEFE0114
	buffer_store_dword v80, v6, s[8:11], 0 offen               // 000000007464: E0701000 80025006
	s_mov_b64 exec, s[36:37]                                   // 00000000746C: BEFE0124
	v_mov_b32_e32 v6, v61                                      // 000000007470: 7E0C033D
	s_mov_b64 s[60:61], 0                                      // 000000007474: BEBC0180
	v_readlane_b32 s82, v3, 2                                  // 000000007478: D2890052 00010503
	s_and_b32 s82, s82, 0xffffff                               // 000000007480: 8652FF52 00FFFFFF
	s_cmp_lt_u32 s82, s66                                      // 000000007488: BF0A4252
	s_cselect_b32 s20, s36, s60                                // 00000000748C: 85143C24
	v_readlane_b32 s82, v3, 3                                  // 000000007490: D2890052 00010703
	s_and_b32 s82, s82, 0xffffff                               // 000000007498: 8652FF52 00FFFFFF
	s_cmp_lt_u32 s82, s66                                      // 0000000074A0: BF0A4252
	s_cselect_b32 s21, s36, s60                                // 0000000074A4: 85153C24
	s_mov_b64 exec, s[20:21]                                   // 0000000074A8: BEFE0114
	buffer_store_dword v81, v6, s[8:11], 0 offen               // 0000000074AC: E0701000 80025106
	s_mov_b64 exec, s[36:37]                                   // 0000000074B4: BEFE0124
	v_mov_b32_e32 v6, v62                                      // 0000000074B8: 7E0C033E
	s_mov_b64 s[60:61], 0                                      // 0000000074BC: BEBC0180
	v_readlane_b32 s82, v3, 4                                  // 0000000074C0: D2890052 00010903
	s_and_b32 s82, s82, 0xffffff                               // 0000000074C8: 8652FF52 00FFFFFF
	s_cmp_lt_u32 s82, s66                                      // 0000000074D0: BF0A4252
	s_cselect_b32 s20, s36, s60                                // 0000000074D4: 85143C24
	v_readlane_b32 s82, v3, 5                                  // 0000000074D8: D2890052 00010B03
	s_and_b32 s82, s82, 0xffffff                               // 0000000074E0: 8652FF52 00FFFFFF
	s_cmp_lt_u32 s82, s66                                      // 0000000074E8: BF0A4252
	s_cselect_b32 s21, s36, s60                                // 0000000074EC: 85153C24
	s_mov_b64 exec, s[20:21]                                   // 0000000074F0: BEFE0114
	buffer_store_dword v82, v6, s[8:11], 0 offen               // 0000000074F4: E0701000 80025206
	s_mov_b64 exec, s[36:37]                                   // 0000000074FC: BEFE0124
	v_mov_b32_e32 v6, v63                                      // 000000007500: 7E0C033F
	s_mov_b64 s[60:61], 0                                      // 000000007504: BEBC0180
	v_readlane_b32 s82, v3, 6                                  // 000000007508: D2890052 00010D03
	s_and_b32 s82, s82, 0xffffff                               // 000000007510: 8652FF52 00FFFFFF
	s_cmp_lt_u32 s82, s66                                      // 000000007518: BF0A4252
	s_cselect_b32 s20, s36, s60                                // 00000000751C: 85143C24
	v_readlane_b32 s82, v3, 7                                  // 000000007520: D2890052 00010F03
	s_and_b32 s82, s82, 0xffffff                               // 000000007528: 8652FF52 00FFFFFF
	s_cmp_lt_u32 s82, s66                                      // 000000007530: BF0A4252
	s_cselect_b32 s21, s36, s60                                // 000000007534: 85153C24
	s_mov_b64 exec, s[20:21]                                   // 000000007538: BEFE0114
	buffer_store_dword v83, v6, s[8:11], 0 offen               // 00000000753C: E0701000 80025306
	s_mov_b64 exec, s[36:37]                                   // 000000007544: BEFE0124
	v_mov_b32_e32 v6, v64                                      // 000000007548: 7E0C0340
	s_mov_b64 s[60:61], 0                                      // 00000000754C: BEBC0180
	v_readlane_b32 s82, v3, 8                                  // 000000007550: D2890052 00011103
	s_and_b32 s82, s82, 0xffffff                               // 000000007558: 8652FF52 00FFFFFF
	s_cmp_lt_u32 s82, s66                                      // 000000007560: BF0A4252
	s_cselect_b32 s20, s36, s60                                // 000000007564: 85143C24
	v_readlane_b32 s82, v3, 9                                  // 000000007568: D2890052 00011303
	s_and_b32 s82, s82, 0xffffff                               // 000000007570: 8652FF52 00FFFFFF
	s_cmp_lt_u32 s82, s66                                      // 000000007578: BF0A4252
	s_cselect_b32 s21, s36, s60                                // 00000000757C: 85153C24
	s_mov_b64 exec, s[20:21]                                   // 000000007580: BEFE0114
	buffer_store_dword v84, v6, s[8:11], 0 offen               // 000000007584: E0701000 80025406
	s_mov_b64 exec, s[36:37]                                   // 00000000758C: BEFE0124
	v_mov_b32_e32 v6, v65                                      // 000000007590: 7E0C0341
	s_mov_b64 s[60:61], 0                                      // 000000007594: BEBC0180
	v_readlane_b32 s82, v3, 10                                 // 000000007598: D2890052 00011503
	s_and_b32 s82, s82, 0xffffff                               // 0000000075A0: 8652FF52 00FFFFFF
	s_cmp_lt_u32 s82, s66                                      // 0000000075A8: BF0A4252
	s_cselect_b32 s20, s36, s60                                // 0000000075AC: 85143C24
	v_readlane_b32 s82, v3, 11                                 // 0000000075B0: D2890052 00011703
	s_and_b32 s82, s82, 0xffffff                               // 0000000075B8: 8652FF52 00FFFFFF
	s_cmp_lt_u32 s82, s66                                      // 0000000075C0: BF0A4252
	s_cselect_b32 s21, s36, s60                                // 0000000075C4: 85153C24
	s_mov_b64 exec, s[20:21]                                   // 0000000075C8: BEFE0114
	buffer_store_dword v85, v6, s[8:11], 0 offen               // 0000000075CC: E0701000 80025506
	s_mov_b64 exec, s[36:37]                                   // 0000000075D4: BEFE0124
	v_mov_b32_e32 v6, v66                                      // 0000000075D8: 7E0C0342
	s_mov_b64 s[60:61], 0                                      // 0000000075DC: BEBC0180
	v_readlane_b32 s82, v3, 12                                 // 0000000075E0: D2890052 00011903
	s_and_b32 s82, s82, 0xffffff                               // 0000000075E8: 8652FF52 00FFFFFF
	s_cmp_lt_u32 s82, s66                                      // 0000000075F0: BF0A4252
	s_cselect_b32 s20, s36, s60                                // 0000000075F4: 85143C24
	v_readlane_b32 s82, v3, 13                                 // 0000000075F8: D2890052 00011B03
	s_and_b32 s82, s82, 0xffffff                               // 000000007600: 8652FF52 00FFFFFF
	s_cmp_lt_u32 s82, s66                                      // 000000007608: BF0A4252
	s_cselect_b32 s21, s36, s60                                // 00000000760C: 85153C24
	s_mov_b64 exec, s[20:21]                                   // 000000007610: BEFE0114
	buffer_store_dword v86, v6, s[8:11], 0 offen               // 000000007614: E0701000 80025606
	s_mov_b64 exec, s[36:37]                                   // 00000000761C: BEFE0124
	v_mov_b32_e32 v6, v67                                      // 000000007620: 7E0C0343
	s_mov_b64 s[60:61], 0                                      // 000000007624: BEBC0180
	v_readlane_b32 s82, v3, 14                                 // 000000007628: D2890052 00011D03
	s_and_b32 s82, s82, 0xffffff                               // 000000007630: 8652FF52 00FFFFFF
	s_cmp_lt_u32 s82, s66                                      // 000000007638: BF0A4252
	s_cselect_b32 s20, s36, s60                                // 00000000763C: 85143C24
	v_readlane_b32 s82, v3, 15                                 // 000000007640: D2890052 00011F03
	s_and_b32 s82, s82, 0xffffff                               // 000000007648: 8652FF52 00FFFFFF
	s_cmp_lt_u32 s82, s66                                      // 000000007650: BF0A4252
	s_cselect_b32 s21, s36, s60                                // 000000007654: 85153C24
	s_mov_b64 exec, s[20:21]                                   // 000000007658: BEFE0114
	buffer_store_dword v87, v6, s[8:11], 0 offen               // 00000000765C: E0701000 80025706
	s_mov_b64 exec, s[36:37]                                   // 000000007664: BEFE0124
	v_mov_b32_e32 v6, v68                                      // 000000007668: 7E0C0344
	s_mov_b64 s[60:61], 0                                      // 00000000766C: BEBC0180
	v_readlane_b32 s82, v3, 16                                 // 000000007670: D2890052 00012103
	s_and_b32 s82, s82, 0xffffff                               // 000000007678: 8652FF52 00FFFFFF
	s_cmp_lt_u32 s82, s66                                      // 000000007680: BF0A4252
	s_cselect_b32 s20, s36, s60                                // 000000007684: 85143C24
	v_readlane_b32 s82, v3, 17                                 // 000000007688: D2890052 00012303
	s_and_b32 s82, s82, 0xffffff                               // 000000007690: 8652FF52 00FFFFFF
	s_cmp_lt_u32 s82, s66                                      // 000000007698: BF0A4252
	s_cselect_b32 s21, s36, s60                                // 00000000769C: 85153C24
	s_mov_b64 exec, s[20:21]                                   // 0000000076A0: BEFE0114
	buffer_store_dword v88, v6, s[8:11], 0 offen               // 0000000076A4: E0701000 80025806
	s_mov_b64 exec, s[36:37]                                   // 0000000076AC: BEFE0124
	v_mov_b32_e32 v6, v69                                      // 0000000076B0: 7E0C0345
	s_mov_b64 s[60:61], 0                                      // 0000000076B4: BEBC0180
	v_readlane_b32 s82, v3, 18                                 // 0000000076B8: D2890052 00012503
	s_and_b32 s82, s82, 0xffffff                               // 0000000076C0: 8652FF52 00FFFFFF
	s_cmp_lt_u32 s82, s66                                      // 0000000076C8: BF0A4252
	s_cselect_b32 s20, s36, s60                                // 0000000076CC: 85143C24
	v_readlane_b32 s82, v3, 19                                 // 0000000076D0: D2890052 00012703
	s_and_b32 s82, s82, 0xffffff                               // 0000000076D8: 8652FF52 00FFFFFF
	s_cmp_lt_u32 s82, s66                                      // 0000000076E0: BF0A4252
	s_cselect_b32 s21, s36, s60                                // 0000000076E4: 85153C24
	s_mov_b64 exec, s[20:21]                                   // 0000000076E8: BEFE0114
	buffer_store_dword v89, v6, s[8:11], 0 offen               // 0000000076EC: E0701000 80025906
	s_mov_b64 exec, s[36:37]                                   // 0000000076F4: BEFE0124
	v_mov_b32_e32 v6, v70                                      // 0000000076F8: 7E0C0346
	s_mov_b64 s[60:61], 0                                      // 0000000076FC: BEBC0180
	v_readlane_b32 s82, v3, 20                                 // 000000007700: D2890052 00012903
	s_and_b32 s82, s82, 0xffffff                               // 000000007708: 8652FF52 00FFFFFF
	s_cmp_lt_u32 s82, s66                                      // 000000007710: BF0A4252
	s_cselect_b32 s20, s36, s60                                // 000000007714: 85143C24
	v_readlane_b32 s82, v3, 21                                 // 000000007718: D2890052 00012B03
	s_and_b32 s82, s82, 0xffffff                               // 000000007720: 8652FF52 00FFFFFF
	s_cmp_lt_u32 s82, s66                                      // 000000007728: BF0A4252
	s_cselect_b32 s21, s36, s60                                // 00000000772C: 85153C24
	s_mov_b64 exec, s[20:21]                                   // 000000007730: BEFE0114
	buffer_store_dword v90, v6, s[8:11], 0 offen               // 000000007734: E0701000 80025A06
	s_mov_b64 exec, s[36:37]                                   // 00000000773C: BEFE0124
	v_mov_b32_e32 v6, v71                                      // 000000007740: 7E0C0347
	s_mov_b64 s[60:61], 0                                      // 000000007744: BEBC0180
	v_readlane_b32 s82, v3, 22                                 // 000000007748: D2890052 00012D03
	s_and_b32 s82, s82, 0xffffff                               // 000000007750: 8652FF52 00FFFFFF
	s_cmp_lt_u32 s82, s66                                      // 000000007758: BF0A4252
	s_cselect_b32 s20, s36, s60                                // 00000000775C: 85143C24
	v_readlane_b32 s82, v3, 23                                 // 000000007760: D2890052 00012F03
	s_and_b32 s82, s82, 0xffffff                               // 000000007768: 8652FF52 00FFFFFF
	s_cmp_lt_u32 s82, s66                                      // 000000007770: BF0A4252
	s_cselect_b32 s21, s36, s60                                // 000000007774: 85153C24
	s_mov_b64 exec, s[20:21]                                   // 000000007778: BEFE0114
	buffer_store_dword v91, v6, s[8:11], 0 offen               // 00000000777C: E0701000 80025B06
	s_mov_b64 exec, s[36:37]                                   // 000000007784: BEFE0124
	v_mov_b32_e32 v6, v72                                      // 000000007788: 7E0C0348
	s_mov_b64 s[60:61], 0                                      // 00000000778C: BEBC0180
	v_readlane_b32 s82, v3, 24                                 // 000000007790: D2890052 00013103
	s_and_b32 s82, s82, 0xffffff                               // 000000007798: 8652FF52 00FFFFFF
	s_cmp_lt_u32 s82, s66                                      // 0000000077A0: BF0A4252
	s_cselect_b32 s20, s36, s60                                // 0000000077A4: 85143C24
	v_readlane_b32 s82, v3, 25                                 // 0000000077A8: D2890052 00013303
	s_and_b32 s82, s82, 0xffffff                               // 0000000077B0: 8652FF52 00FFFFFF
	s_cmp_lt_u32 s82, s66                                      // 0000000077B8: BF0A4252
	s_cselect_b32 s21, s36, s60                                // 0000000077BC: 85153C24
	s_mov_b64 exec, s[20:21]                                   // 0000000077C0: BEFE0114
	buffer_store_dword v92, v6, s[8:11], 0 offen               // 0000000077C4: E0701000 80025C06
	s_mov_b64 exec, s[36:37]                                   // 0000000077CC: BEFE0124
	v_mov_b32_e32 v6, v73                                      // 0000000077D0: 7E0C0349
	s_mov_b64 s[60:61], 0                                      // 0000000077D4: BEBC0180
	v_readlane_b32 s82, v3, 26                                 // 0000000077D8: D2890052 00013503
	s_and_b32 s82, s82, 0xffffff                               // 0000000077E0: 8652FF52 00FFFFFF
	s_cmp_lt_u32 s82, s66                                      // 0000000077E8: BF0A4252
	s_cselect_b32 s20, s36, s60                                // 0000000077EC: 85143C24
	v_readlane_b32 s82, v3, 27                                 // 0000000077F0: D2890052 00013703
	s_and_b32 s82, s82, 0xffffff                               // 0000000077F8: 8652FF52 00FFFFFF
	s_cmp_lt_u32 s82, s66                                      // 000000007800: BF0A4252
	s_cselect_b32 s21, s36, s60                                // 000000007804: 85153C24
	s_mov_b64 exec, s[20:21]                                   // 000000007808: BEFE0114
	buffer_store_dword v93, v6, s[8:11], 0 offen               // 00000000780C: E0701000 80025D06
	s_mov_b64 exec, s[36:37]                                   // 000000007814: BEFE0124
	v_mov_b32_e32 v6, v74                                      // 000000007818: 7E0C034A
	s_mov_b64 s[60:61], 0                                      // 00000000781C: BEBC0180
	v_readlane_b32 s82, v3, 28                                 // 000000007820: D2890052 00013903
	s_and_b32 s82, s82, 0xffffff                               // 000000007828: 8652FF52 00FFFFFF
	s_cmp_lt_u32 s82, s66                                      // 000000007830: BF0A4252
	s_cselect_b32 s20, s36, s60                                // 000000007834: 85143C24
	v_readlane_b32 s82, v3, 29                                 // 000000007838: D2890052 00013B03
	s_and_b32 s82, s82, 0xffffff                               // 000000007840: 8652FF52 00FFFFFF
	s_cmp_lt_u32 s82, s66                                      // 000000007848: BF0A4252
	s_cselect_b32 s21, s36, s60                                // 00000000784C: 85153C24
	s_mov_b64 exec, s[20:21]                                   // 000000007850: BEFE0114
	buffer_store_dword v94, v6, s[8:11], 0 offen               // 000000007854: E0701000 80025E06
	s_mov_b64 exec, s[36:37]                                   // 00000000785C: BEFE0124
	v_mov_b32_e32 v6, v75                                      // 000000007860: 7E0C034B
	s_mov_b64 s[60:61], 0                                      // 000000007864: BEBC0180
	v_readlane_b32 s82, v3, 30                                 // 000000007868: D2890052 00013D03
	s_and_b32 s82, s82, 0xffffff                               // 000000007870: 8652FF52 00FFFFFF
	s_cmp_lt_u32 s82, s66                                      // 000000007878: BF0A4252
	s_cselect_b32 s20, s36, s60                                // 00000000787C: 85143C24
	v_readlane_b32 s82, v3, 31                                 // 000000007880: D2890052 00013F03
	s_and_b32 s82, s82, 0xffffff                               // 000000007888: 8652FF52 00FFFFFF
	s_cmp_lt_u32 s82, s66                                      // 000000007890: BF0A4252
	s_cselect_b32 s21, s36, s60                                // 000000007894: 85153C24
	s_mov_b64 exec, s[20:21]                                   // 000000007898: BEFE0114
	buffer_store_dword v95, v6, s[8:11], 0 offen               // 00000000789C: E0701000 80025F06
	s_mov_b64 exec, s[36:37]                                   // 0000000078A4: BEFE0124
	s_cmp_eq_u32 s7, 0                                         // 0000000078A8: BF068007
	s_cbranch_scc0 label_3494                                  // 0000000078AC: BF8420E5
	s_waitcnt vmcnt(16)                                        // 0000000078B0: BF8C4F70
	s_mov_b32 s8, s90                                          // 0000000078B4: BE88005A
	s_mov_b32 s9, s91                                          // 0000000078B8: BE89005B
	s_mul_i32 s60, s66, s71                                    // 0000000078BC: 923C4742
	s_add_u32 s8, s60, s8                                      // 0000000078C0: 8008083C
	s_addc_u32 s9, 0, s9                                       // 0000000078C4: 82090980
	s_lshr_b32 s71, s71, 5                                     // 0000000078C8: 8F478547
	s_mul_i32 s60, s66, s71                                    // 0000000078CC: 923C4742
	s_mov_b32 s10, s60                                         // 0000000078D0: BE8A003C
	s_lshr_b32 s61, s65, 5                                     // 0000000078D4: 8F3D8541
	s_mul_i32 s60, s2, 4                                       // 0000000078D8: 923C8402
	v_lshrrev_b32_e32 v4, 24, v28                              // 0000000078DC: 20083898
	v_mul_lo_u32 v4, s61, v4                                   // 0000000078E0: D2850004 0002083D
	v_and_b32_e32 v28, 0xffffff, v28                           // 0000000078E8: 263838FF 00FFFFFF
	v_mul_lo_u32 v28, s71, v28                                 // 0000000078F0: D285001C 00023847
	v_add_u32_e32 v28, v4, v28                                 // 0000000078F8: 68383904
	v_add_u32_e32 v28, s60, v28                                // 0000000078FC: 6838383C
	v_lshrrev_b32_e32 v4, 24, v29                              // 000000007900: 20083A98
	v_mul_lo_u32 v4, s61, v4                                   // 000000007904: D2850004 0002083D
	v_and_b32_e32 v29, 0xffffff, v29                           // 00000000790C: 263A3AFF 00FFFFFF
	v_mul_lo_u32 v29, s71, v29                                 // 000000007914: D285001D 00023A47
	v_add_u32_e32 v29, v4, v29                                 // 00000000791C: 683A3B04
	v_add_u32_e32 v29, s60, v29                                // 000000007920: 683A3A3C
	v_lshrrev_b32_e32 v4, 24, v30                              // 000000007924: 20083C98
	v_mul_lo_u32 v4, s61, v4                                   // 000000007928: D2850004 0002083D
	v_and_b32_e32 v30, 0xffffff, v30                           // 000000007930: 263C3CFF 00FFFFFF
	v_mul_lo_u32 v30, s71, v30                                 // 000000007938: D285001E 00023C47
	v_add_u32_e32 v30, v4, v30                                 // 000000007940: 683C3D04
	v_add_u32_e32 v30, s60, v30                                // 000000007944: 683C3C3C
	v_lshrrev_b32_e32 v4, 24, v31                              // 000000007948: 20083E98
	v_mul_lo_u32 v4, s61, v4                                   // 00000000794C: D2850004 0002083D
	v_and_b32_e32 v31, 0xffffff, v31                           // 000000007954: 263E3EFF 00FFFFFF
	v_mul_lo_u32 v31, s71, v31                                 // 00000000795C: D285001F 00023E47
	v_add_u32_e32 v31, v4, v31                                 // 000000007964: 683E3F04
	v_add_u32_e32 v31, s60, v31                                // 000000007968: 683E3E3C
	v_lshrrev_b32_e32 v4, 24, v32                              // 00000000796C: 20084098
	v_mul_lo_u32 v4, s61, v4                                   // 000000007970: D2850004 0002083D
	v_and_b32_e32 v32, 0xffffff, v32                           // 000000007978: 264040FF 00FFFFFF
	v_mul_lo_u32 v32, s71, v32                                 // 000000007980: D2850020 00024047
	v_add_u32_e32 v32, v4, v32                                 // 000000007988: 68404104
	v_add_u32_e32 v32, s60, v32                                // 00000000798C: 6840403C
	v_lshrrev_b32_e32 v4, 24, v33                              // 000000007990: 20084298
	v_mul_lo_u32 v4, s61, v4                                   // 000000007994: D2850004 0002083D
	v_and_b32_e32 v33, 0xffffff, v33                           // 00000000799C: 264242FF 00FFFFFF
	v_mul_lo_u32 v33, s71, v33                                 // 0000000079A4: D2850021 00024247
	v_add_u32_e32 v33, v4, v33                                 // 0000000079AC: 68424304
	v_add_u32_e32 v33, s60, v33                                // 0000000079B0: 6842423C
	v_lshrrev_b32_e32 v4, 24, v34                              // 0000000079B4: 20084498
	v_mul_lo_u32 v4, s61, v4                                   // 0000000079B8: D2850004 0002083D
	v_and_b32_e32 v34, 0xffffff, v34                           // 0000000079C0: 264444FF 00FFFFFF
	v_mul_lo_u32 v34, s71, v34                                 // 0000000079C8: D2850022 00024447
	v_add_u32_e32 v34, v4, v34                                 // 0000000079D0: 68444504
	v_add_u32_e32 v34, s60, v34                                // 0000000079D4: 6844443C
	v_lshrrev_b32_e32 v4, 24, v35                              // 0000000079D8: 20084698
	v_mul_lo_u32 v4, s61, v4                                   // 0000000079DC: D2850004 0002083D
	v_and_b32_e32 v35, 0xffffff, v35                           // 0000000079E4: 264646FF 00FFFFFF
	v_mul_lo_u32 v35, s71, v35                                 // 0000000079EC: D2850023 00024647
	v_add_u32_e32 v35, v4, v35                                 // 0000000079F4: 68464704
	v_add_u32_e32 v35, s60, v35                                // 0000000079F8: 6846463C
	s_mov_b64 exec, 0xffff                                     // 0000000079FC: BEFE01FF 0000FFFF
	buffer_store_dword v144, v28, s[8:11], 0 offen             // 000000007A04: E0701000 8002901C
	buffer_store_dword v145, v29, s[8:11], 0 offen             // 000000007A0C: E0701000 8002911D
	buffer_store_dword v146, v30, s[8:11], 0 offen             // 000000007A14: E0701000 8002921E
	buffer_store_dword v147, v31, s[8:11], 0 offen             // 000000007A1C: E0701000 8002931F
	buffer_store_dword v148, v32, s[8:11], 0 offen             // 000000007A24: E0701000 80029420
	buffer_store_dword v149, v33, s[8:11], 0 offen             // 000000007A2C: E0701000 80029521
	buffer_store_dword v150, v34, s[8:11], 0 offen             // 000000007A34: E0701000 80029622
	buffer_store_dword v151, v35, s[8:11], 0 offen             // 000000007A3C: E0701000 80029723
	s_mov_b64 exec, s[36:37]                                   // 000000007A44: BEFE0124
	s_branch label_3494                                        // 000000007A48: BF82207E

0000000000007a4c <label_1413>:
	ds_write_b64 v20, v[80:81]                                 // 000000007A4C: D89A0000 00005014
	ds_write_b64 v20, v[84:85] offset:4352                     // 000000007A54: D89A1100 00005414
	ds_write_b64 v20, v[88:89] offset:8704                     // 000000007A5C: D89A2200 00005814
	ds_write_b64 v20, v[92:93] offset:13056                    // 000000007A64: D89A3300 00005C14
	ds_write_b64 v20, v[96:97] offset:17408                    // 000000007A6C: D89A4400 00006014
	ds_write_b64 v20, v[100:101] offset:21760                  // 000000007A74: D89A5500 00006414
	ds_write_b64 v20, v[104:105] offset:26112                  // 000000007A7C: D89A6600 00006814
	ds_write_b64 v20, v[108:109] offset:30464                  // 000000007A84: D89A7700 00006C14
	ds_write_b64 v20, v[112:113] offset:2176                   // 000000007A8C: D89A0880 00007014
	ds_write_b64 v20, v[116:117] offset:6528                   // 000000007A94: D89A1980 00007414
	ds_write_b64 v20, v[120:121] offset:10880                  // 000000007A9C: D89A2A80 00007814
	ds_write_b64 v20, v[124:125] offset:15232                  // 000000007AA4: D89A3B80 00007C14
	ds_write_b64 v20, v[128:129] offset:19584                  // 000000007AAC: D89A4C80 00008014
	ds_write_b64 v20, v[132:133] offset:23936                  // 000000007AB4: D89A5D80 00008414
	ds_write_b64 v20, v[136:137] offset:28288                  // 000000007ABC: D89A6E80 00008814
	ds_write_b64 v20, v[140:141] offset:32640                  // 000000007AC4: D89A7F80 00008C14
	v_lshrrev_b32_e32 v4, 5, v0                                // 000000007ACC: 20080085
	v_xor_b32_e32 v5, 1, v4                                    // 000000007AD0: 2A0A0881
	s_mul_i32 s60, s65, 1                                      // 000000007AD4: 923C8141
	s_cmp_eq_u32 s88, 0                                        // 000000007AD8: BF068058
	s_cselect_b32 s61, 1, 8                                    // 000000007ADC: 853D8881
	s_mul_i32 s60, s61, s60                                    // 000000007AE0: 923C3C3D
	v_readlane_b32 s82, v3, 0                                  // 000000007AE4: D2890052 00010103
	s_lshr_b32 s61, s82, 24                                    // 000000007AEC: 8F3D9852
	s_and_b32 s82, s82, 0xffffff                               // 000000007AF0: 8652FF52 00FFFFFF
	s_mul_i32 s82, s82, s71                                    // 000000007AF8: 92524752
	s_mul_i32 s61, s60, s61                                    // 000000007AFC: 923D3D3C
	s_add_u32 s82, s82, s61                                    // 000000007B00: 80523D52
	v_mul_lo_u32 v6, v5, s82                                   // 000000007B04: D2850006 0000A505
	v_readlane_b32 s82, v3, 1                                  // 000000007B0C: D2890052 00010303
	s_lshr_b32 s61, s82, 24                                    // 000000007B14: 8F3D9852
	s_and_b32 s82, s82, 0xffffff                               // 000000007B18: 8652FF52 00FFFFFF
	s_mul_i32 s82, s82, s71                                    // 000000007B20: 92524752
	s_mul_i32 s61, s60, s61                                    // 000000007B24: 923D3D3C
	s_add_u32 s82, s82, s61                                    // 000000007B28: 80523D52
	v_mul_lo_u32 v7, v4, s82                                   // 000000007B2C: D2850007 0000A504
	v_add_u32_e32 v60, v6, v7                                  // 000000007B34: 68780F06
	v_readlane_b32 s82, v3, 2                                  // 000000007B38: D2890052 00010503
	s_lshr_b32 s61, s82, 24                                    // 000000007B40: 8F3D9852
	s_and_b32 s82, s82, 0xffffff                               // 000000007B44: 8652FF52 00FFFFFF
	s_mul_i32 s82, s82, s71                                    // 000000007B4C: 92524752
	s_mul_i32 s61, s60, s61                                    // 000000007B50: 923D3D3C
	s_add_u32 s82, s82, s61                                    // 000000007B54: 80523D52
	v_mul_lo_u32 v6, v5, s82                                   // 000000007B58: D2850006 0000A505
	v_readlane_b32 s82, v3, 3                                  // 000000007B60: D2890052 00010703
	s_lshr_b32 s61, s82, 24                                    // 000000007B68: 8F3D9852
	s_and_b32 s82, s82, 0xffffff                               // 000000007B6C: 8652FF52 00FFFFFF
	s_mul_i32 s82, s82, s71                                    // 000000007B74: 92524752
	s_mul_i32 s61, s60, s61                                    // 000000007B78: 923D3D3C
	s_add_u32 s82, s82, s61                                    // 000000007B7C: 80523D52
	v_mul_lo_u32 v7, v4, s82                                   // 000000007B80: D2850007 0000A504
	v_add_u32_e32 v61, v6, v7                                  // 000000007B88: 687A0F06
	v_readlane_b32 s82, v3, 4                                  // 000000007B8C: D2890052 00010903
	s_lshr_b32 s61, s82, 24                                    // 000000007B94: 8F3D9852
	s_and_b32 s82, s82, 0xffffff                               // 000000007B98: 8652FF52 00FFFFFF
	s_mul_i32 s82, s82, s71                                    // 000000007BA0: 92524752
	s_mul_i32 s61, s60, s61                                    // 000000007BA4: 923D3D3C
	s_add_u32 s82, s82, s61                                    // 000000007BA8: 80523D52
	v_mul_lo_u32 v6, v5, s82                                   // 000000007BAC: D2850006 0000A505
	v_readlane_b32 s82, v3, 5                                  // 000000007BB4: D2890052 00010B03
	s_lshr_b32 s61, s82, 24                                    // 000000007BBC: 8F3D9852
	s_and_b32 s82, s82, 0xffffff                               // 000000007BC0: 8652FF52 00FFFFFF
	s_mul_i32 s82, s82, s71                                    // 000000007BC8: 92524752
	s_mul_i32 s61, s60, s61                                    // 000000007BCC: 923D3D3C
	s_add_u32 s82, s82, s61                                    // 000000007BD0: 80523D52
	v_mul_lo_u32 v7, v4, s82                                   // 000000007BD4: D2850007 0000A504
	v_add_u32_e32 v62, v6, v7                                  // 000000007BDC: 687C0F06
	v_readlane_b32 s82, v3, 6                                  // 000000007BE0: D2890052 00010D03
	s_lshr_b32 s61, s82, 24                                    // 000000007BE8: 8F3D9852
	s_and_b32 s82, s82, 0xffffff                               // 000000007BEC: 8652FF52 00FFFFFF
	s_mul_i32 s82, s82, s71                                    // 000000007BF4: 92524752
	s_mul_i32 s61, s60, s61                                    // 000000007BF8: 923D3D3C
	s_add_u32 s82, s82, s61                                    // 000000007BFC: 80523D52
	v_mul_lo_u32 v6, v5, s82                                   // 000000007C00: D2850006 0000A505
	v_readlane_b32 s82, v3, 7                                  // 000000007C08: D2890052 00010F03
	s_lshr_b32 s61, s82, 24                                    // 000000007C10: 8F3D9852
	s_and_b32 s82, s82, 0xffffff                               // 000000007C14: 8652FF52 00FFFFFF
	s_mul_i32 s82, s82, s71                                    // 000000007C1C: 92524752
	s_mul_i32 s61, s60, s61                                    // 000000007C20: 923D3D3C
	s_add_u32 s82, s82, s61                                    // 000000007C24: 80523D52
	v_mul_lo_u32 v7, v4, s82                                   // 000000007C28: D2850007 0000A504
	v_add_u32_e32 v63, v6, v7                                  // 000000007C30: 687E0F06
	v_readlane_b32 s82, v3, 8                                  // 000000007C34: D2890052 00011103
	s_lshr_b32 s61, s82, 24                                    // 000000007C3C: 8F3D9852
	s_and_b32 s82, s82, 0xffffff                               // 000000007C40: 8652FF52 00FFFFFF
	s_mul_i32 s82, s82, s71                                    // 000000007C48: 92524752
	s_mul_i32 s61, s60, s61                                    // 000000007C4C: 923D3D3C
	s_add_u32 s82, s82, s61                                    // 000000007C50: 80523D52
	v_mul_lo_u32 v6, v5, s82                                   // 000000007C54: D2850006 0000A505
	v_readlane_b32 s82, v3, 9                                  // 000000007C5C: D2890052 00011303
	s_lshr_b32 s61, s82, 24                                    // 000000007C64: 8F3D9852
	s_and_b32 s82, s82, 0xffffff                               // 000000007C68: 8652FF52 00FFFFFF
	s_mul_i32 s82, s82, s71                                    // 000000007C70: 92524752
	s_mul_i32 s61, s60, s61                                    // 000000007C74: 923D3D3C
	s_add_u32 s82, s82, s61                                    // 000000007C78: 80523D52
	v_mul_lo_u32 v7, v4, s82                                   // 000000007C7C: D2850007 0000A504
	v_add_u32_e32 v64, v6, v7                                  // 000000007C84: 68800F06
	v_readlane_b32 s82, v3, 10                                 // 000000007C88: D2890052 00011503
	s_lshr_b32 s61, s82, 24                                    // 000000007C90: 8F3D9852
	s_and_b32 s82, s82, 0xffffff                               // 000000007C94: 8652FF52 00FFFFFF
	s_mul_i32 s82, s82, s71                                    // 000000007C9C: 92524752
	s_mul_i32 s61, s60, s61                                    // 000000007CA0: 923D3D3C
	s_add_u32 s82, s82, s61                                    // 000000007CA4: 80523D52
	v_mul_lo_u32 v6, v5, s82                                   // 000000007CA8: D2850006 0000A505
	v_readlane_b32 s82, v3, 11                                 // 000000007CB0: D2890052 00011703
	s_lshr_b32 s61, s82, 24                                    // 000000007CB8: 8F3D9852
	s_and_b32 s82, s82, 0xffffff                               // 000000007CBC: 8652FF52 00FFFFFF
	s_mul_i32 s82, s82, s71                                    // 000000007CC4: 92524752
	s_mul_i32 s61, s60, s61                                    // 000000007CC8: 923D3D3C
	s_add_u32 s82, s82, s61                                    // 000000007CCC: 80523D52
	v_mul_lo_u32 v7, v4, s82                                   // 000000007CD0: D2850007 0000A504
	v_add_u32_e32 v65, v6, v7                                  // 000000007CD8: 68820F06
	v_readlane_b32 s82, v3, 12                                 // 000000007CDC: D2890052 00011903
	s_lshr_b32 s61, s82, 24                                    // 000000007CE4: 8F3D9852
	s_and_b32 s82, s82, 0xffffff                               // 000000007CE8: 8652FF52 00FFFFFF
	s_mul_i32 s82, s82, s71                                    // 000000007CF0: 92524752
	s_mul_i32 s61, s60, s61                                    // 000000007CF4: 923D3D3C
	s_add_u32 s82, s82, s61                                    // 000000007CF8: 80523D52
	v_mul_lo_u32 v6, v5, s82                                   // 000000007CFC: D2850006 0000A505
	v_readlane_b32 s82, v3, 13                                 // 000000007D04: D2890052 00011B03
	s_lshr_b32 s61, s82, 24                                    // 000000007D0C: 8F3D9852
	s_and_b32 s82, s82, 0xffffff                               // 000000007D10: 8652FF52 00FFFFFF
	s_mul_i32 s82, s82, s71                                    // 000000007D18: 92524752
	s_mul_i32 s61, s60, s61                                    // 000000007D1C: 923D3D3C
	s_add_u32 s82, s82, s61                                    // 000000007D20: 80523D52
	v_mul_lo_u32 v7, v4, s82                                   // 000000007D24: D2850007 0000A504
	v_add_u32_e32 v66, v6, v7                                  // 000000007D2C: 68840F06
	v_readlane_b32 s82, v3, 14                                 // 000000007D30: D2890052 00011D03
	s_lshr_b32 s61, s82, 24                                    // 000000007D38: 8F3D9852
	s_and_b32 s82, s82, 0xffffff                               // 000000007D3C: 8652FF52 00FFFFFF
	s_mul_i32 s82, s82, s71                                    // 000000007D44: 92524752
	s_mul_i32 s61, s60, s61                                    // 000000007D48: 923D3D3C
	s_add_u32 s82, s82, s61                                    // 000000007D4C: 80523D52
	v_mul_lo_u32 v6, v5, s82                                   // 000000007D50: D2850006 0000A505
	v_readlane_b32 s82, v3, 15                                 // 000000007D58: D2890052 00011F03
	s_lshr_b32 s61, s82, 24                                    // 000000007D60: 8F3D9852
	s_and_b32 s82, s82, 0xffffff                               // 000000007D64: 8652FF52 00FFFFFF
	s_mul_i32 s82, s82, s71                                    // 000000007D6C: 92524752
	s_mul_i32 s61, s60, s61                                    // 000000007D70: 923D3D3C
	s_add_u32 s82, s82, s61                                    // 000000007D74: 80523D52
	v_mul_lo_u32 v7, v4, s82                                   // 000000007D78: D2850007 0000A504
	v_add_u32_e32 v67, v6, v7                                  // 000000007D80: 68860F06
	v_readlane_b32 s82, v3, 16                                 // 000000007D84: D2890052 00012103
	s_lshr_b32 s61, s82, 24                                    // 000000007D8C: 8F3D9852
	s_and_b32 s82, s82, 0xffffff                               // 000000007D90: 8652FF52 00FFFFFF
	s_mul_i32 s82, s82, s71                                    // 000000007D98: 92524752
	s_mul_i32 s61, s60, s61                                    // 000000007D9C: 923D3D3C
	s_add_u32 s82, s82, s61                                    // 000000007DA0: 80523D52
	v_mul_lo_u32 v6, v5, s82                                   // 000000007DA4: D2850006 0000A505
	v_readlane_b32 s82, v3, 17                                 // 000000007DAC: D2890052 00012303
	s_lshr_b32 s61, s82, 24                                    // 000000007DB4: 8F3D9852
	s_and_b32 s82, s82, 0xffffff                               // 000000007DB8: 8652FF52 00FFFFFF
	s_mul_i32 s82, s82, s71                                    // 000000007DC0: 92524752
	s_mul_i32 s61, s60, s61                                    // 000000007DC4: 923D3D3C
	s_add_u32 s82, s82, s61                                    // 000000007DC8: 80523D52
	v_mul_lo_u32 v7, v4, s82                                   // 000000007DCC: D2850007 0000A504
	v_add_u32_e32 v68, v6, v7                                  // 000000007DD4: 68880F06
	v_readlane_b32 s82, v3, 18                                 // 000000007DD8: D2890052 00012503
	s_lshr_b32 s61, s82, 24                                    // 000000007DE0: 8F3D9852
	s_and_b32 s82, s82, 0xffffff                               // 000000007DE4: 8652FF52 00FFFFFF
	s_mul_i32 s82, s82, s71                                    // 000000007DEC: 92524752
	s_mul_i32 s61, s60, s61                                    // 000000007DF0: 923D3D3C
	s_add_u32 s82, s82, s61                                    // 000000007DF4: 80523D52
	v_mul_lo_u32 v6, v5, s82                                   // 000000007DF8: D2850006 0000A505
	v_readlane_b32 s82, v3, 19                                 // 000000007E00: D2890052 00012703
	s_lshr_b32 s61, s82, 24                                    // 000000007E08: 8F3D9852
	s_and_b32 s82, s82, 0xffffff                               // 000000007E0C: 8652FF52 00FFFFFF
	s_mul_i32 s82, s82, s71                                    // 000000007E14: 92524752
	s_mul_i32 s61, s60, s61                                    // 000000007E18: 923D3D3C
	s_add_u32 s82, s82, s61                                    // 000000007E1C: 80523D52
	v_mul_lo_u32 v7, v4, s82                                   // 000000007E20: D2850007 0000A504
	v_add_u32_e32 v69, v6, v7                                  // 000000007E28: 688A0F06
	v_readlane_b32 s82, v3, 20                                 // 000000007E2C: D2890052 00012903
	s_lshr_b32 s61, s82, 24                                    // 000000007E34: 8F3D9852
	s_and_b32 s82, s82, 0xffffff                               // 000000007E38: 8652FF52 00FFFFFF
	s_mul_i32 s82, s82, s71                                    // 000000007E40: 92524752
	s_mul_i32 s61, s60, s61                                    // 000000007E44: 923D3D3C
	s_add_u32 s82, s82, s61                                    // 000000007E48: 80523D52
	v_mul_lo_u32 v6, v5, s82                                   // 000000007E4C: D2850006 0000A505
	v_readlane_b32 s82, v3, 21                                 // 000000007E54: D2890052 00012B03
	s_lshr_b32 s61, s82, 24                                    // 000000007E5C: 8F3D9852
	s_and_b32 s82, s82, 0xffffff                               // 000000007E60: 8652FF52 00FFFFFF
	s_mul_i32 s82, s82, s71                                    // 000000007E68: 92524752
	s_mul_i32 s61, s60, s61                                    // 000000007E6C: 923D3D3C
	s_add_u32 s82, s82, s61                                    // 000000007E70: 80523D52
	v_mul_lo_u32 v7, v4, s82                                   // 000000007E74: D2850007 0000A504
	v_add_u32_e32 v70, v6, v7                                  // 000000007E7C: 688C0F06
	v_readlane_b32 s82, v3, 22                                 // 000000007E80: D2890052 00012D03
	s_lshr_b32 s61, s82, 24                                    // 000000007E88: 8F3D9852
	s_and_b32 s82, s82, 0xffffff                               // 000000007E8C: 8652FF52 00FFFFFF
	s_mul_i32 s82, s82, s71                                    // 000000007E94: 92524752
	s_mul_i32 s61, s60, s61                                    // 000000007E98: 923D3D3C
	s_add_u32 s82, s82, s61                                    // 000000007E9C: 80523D52
	v_mul_lo_u32 v6, v5, s82                                   // 000000007EA0: D2850006 0000A505
	v_readlane_b32 s82, v3, 23                                 // 000000007EA8: D2890052 00012F03
	s_lshr_b32 s61, s82, 24                                    // 000000007EB0: 8F3D9852
	s_and_b32 s82, s82, 0xffffff                               // 000000007EB4: 8652FF52 00FFFFFF
	s_mul_i32 s82, s82, s71                                    // 000000007EBC: 92524752
	s_mul_i32 s61, s60, s61                                    // 000000007EC0: 923D3D3C
	s_add_u32 s82, s82, s61                                    // 000000007EC4: 80523D52
	v_mul_lo_u32 v7, v4, s82                                   // 000000007EC8: D2850007 0000A504
	v_add_u32_e32 v71, v6, v7                                  // 000000007ED0: 688E0F06
	v_readlane_b32 s82, v3, 24                                 // 000000007ED4: D2890052 00013103
	s_lshr_b32 s61, s82, 24                                    // 000000007EDC: 8F3D9852
	s_and_b32 s82, s82, 0xffffff                               // 000000007EE0: 8652FF52 00FFFFFF
	s_mul_i32 s82, s82, s71                                    // 000000007EE8: 92524752
	s_mul_i32 s61, s60, s61                                    // 000000007EEC: 923D3D3C
	s_add_u32 s82, s82, s61                                    // 000000007EF0: 80523D52
	v_mul_lo_u32 v6, v5, s82                                   // 000000007EF4: D2850006 0000A505
	v_readlane_b32 s82, v3, 25                                 // 000000007EFC: D2890052 00013303
	s_lshr_b32 s61, s82, 24                                    // 000000007F04: 8F3D9852
	s_and_b32 s82, s82, 0xffffff                               // 000000007F08: 8652FF52 00FFFFFF
	s_mul_i32 s82, s82, s71                                    // 000000007F10: 92524752
	s_mul_i32 s61, s60, s61                                    // 000000007F14: 923D3D3C
	s_add_u32 s82, s82, s61                                    // 000000007F18: 80523D52
	v_mul_lo_u32 v7, v4, s82                                   // 000000007F1C: D2850007 0000A504
	v_add_u32_e32 v72, v6, v7                                  // 000000007F24: 68900F06
	v_readlane_b32 s82, v3, 26                                 // 000000007F28: D2890052 00013503
	s_lshr_b32 s61, s82, 24                                    // 000000007F30: 8F3D9852
	s_and_b32 s82, s82, 0xffffff                               // 000000007F34: 8652FF52 00FFFFFF
	s_mul_i32 s82, s82, s71                                    // 000000007F3C: 92524752
	s_mul_i32 s61, s60, s61                                    // 000000007F40: 923D3D3C
	s_add_u32 s82, s82, s61                                    // 000000007F44: 80523D52
	v_mul_lo_u32 v6, v5, s82                                   // 000000007F48: D2850006 0000A505
	v_readlane_b32 s82, v3, 27                                 // 000000007F50: D2890052 00013703
	s_lshr_b32 s61, s82, 24                                    // 000000007F58: 8F3D9852
	s_and_b32 s82, s82, 0xffffff                               // 000000007F5C: 8652FF52 00FFFFFF
	s_mul_i32 s82, s82, s71                                    // 000000007F64: 92524752
	s_mul_i32 s61, s60, s61                                    // 000000007F68: 923D3D3C
	s_add_u32 s82, s82, s61                                    // 000000007F6C: 80523D52
	v_mul_lo_u32 v7, v4, s82                                   // 000000007F70: D2850007 0000A504
	v_add_u32_e32 v73, v6, v7                                  // 000000007F78: 68920F06
	v_readlane_b32 s82, v3, 28                                 // 000000007F7C: D2890052 00013903
	s_lshr_b32 s61, s82, 24                                    // 000000007F84: 8F3D9852
	s_and_b32 s82, s82, 0xffffff                               // 000000007F88: 8652FF52 00FFFFFF
	s_mul_i32 s82, s82, s71                                    // 000000007F90: 92524752
	s_mul_i32 s61, s60, s61                                    // 000000007F94: 923D3D3C
	s_add_u32 s82, s82, s61                                    // 000000007F98: 80523D52
	v_mul_lo_u32 v6, v5, s82                                   // 000000007F9C: D2850006 0000A505
	v_readlane_b32 s82, v3, 29                                 // 000000007FA4: D2890052 00013B03
	s_lshr_b32 s61, s82, 24                                    // 000000007FAC: 8F3D9852
	s_and_b32 s82, s82, 0xffffff                               // 000000007FB0: 8652FF52 00FFFFFF
	s_mul_i32 s82, s82, s71                                    // 000000007FB8: 92524752
	s_mul_i32 s61, s60, s61                                    // 000000007FBC: 923D3D3C
	s_add_u32 s82, s82, s61                                    // 000000007FC0: 80523D52
	v_mul_lo_u32 v7, v4, s82                                   // 000000007FC4: D2850007 0000A504
	v_add_u32_e32 v74, v6, v7                                  // 000000007FCC: 68940F06
	v_readlane_b32 s82, v3, 30                                 // 000000007FD0: D2890052 00013D03
	s_lshr_b32 s61, s82, 24                                    // 000000007FD8: 8F3D9852
	s_and_b32 s82, s82, 0xffffff                               // 000000007FDC: 8652FF52 00FFFFFF
	s_mul_i32 s82, s82, s71                                    // 000000007FE4: 92524752
	s_mul_i32 s61, s60, s61                                    // 000000007FE8: 923D3D3C
	s_add_u32 s82, s82, s61                                    // 000000007FEC: 80523D52
	v_mul_lo_u32 v6, v5, s82                                   // 000000007FF0: D2850006 0000A505
	v_readlane_b32 s82, v3, 31                                 // 000000007FF8: D2890052 00013F03
	s_lshr_b32 s61, s82, 24                                    // 000000008000: 8F3D9852
	s_and_b32 s82, s82, 0xffffff                               // 000000008004: 8652FF52 00FFFFFF
	s_mul_i32 s82, s82, s71                                    // 00000000800C: 92524752
	s_mul_i32 s61, s60, s61                                    // 000000008010: 923D3D3C
	s_add_u32 s82, s82, s61                                    // 000000008014: 80523D52
	v_mul_lo_u32 v7, v4, s82                                   // 000000008018: D2850007 0000A504
	v_add_u32_e32 v75, v6, v7                                  // 000000008020: 68960F06
	v_and_b32_e32 v4, 31, v0                                   // 000000008024: 2608009F
	v_lshrrev_b32_e32 v4, 1, v4                                // 000000008028: 20080881
	s_cmp_eq_u32 s88, 0                                        // 00000000802C: BF068058
	s_cselect_b32 s61, 2, 4                                    // 000000008030: 853D8482
	v_mul_lo_u32 v4, v4, s61                                   // 000000008034: D2850004 00007B04
	v_and_b32_e64 v5, v0, 1                                    // 00000000803C: D1130005 00010300
	v_add_u32_e32 v4, v4, v5                                   // 000000008044: 68080B04
	v_lshlrev_b32_e32 v4, 2, v4                                // 000000008048: 24080882
	v_add_u32_e32 v60, v60, v4                                 // 00000000804C: 6878093C
	v_add_u32_e32 v61, v61, v4                                 // 000000008050: 687A093D
	v_add_u32_e32 v62, v62, v4                                 // 000000008054: 687C093E
	v_add_u32_e32 v63, v63, v4                                 // 000000008058: 687E093F
	v_add_u32_e32 v64, v64, v4                                 // 00000000805C: 68800940
	v_add_u32_e32 v65, v65, v4                                 // 000000008060: 68820941
	v_add_u32_e32 v66, v66, v4                                 // 000000008064: 68840942
	;; [unrolled: 1-line block ×3, first 2 shown]
	v_add_u32_e32 v68, v68, v4                                 // 00000000806C: 68880944
	v_add_u32_e32 v69, v69, v4                                 // 000000008070: 688A0945
	v_add_u32_e32 v70, v70, v4                                 // 000000008074: 688C0946
	v_add_u32_e32 v71, v71, v4                                 // 000000008078: 688E0947
	v_add_u32_e32 v72, v72, v4                                 // 00000000807C: 68900948
	v_add_u32_e32 v73, v73, v4                                 // 000000008080: 68920949
	v_add_u32_e32 v74, v74, v4                                 // 000000008084: 6894094A
	v_add_u32_e32 v75, v75, v4                                 // 000000008088: 6896094B
	s_waitcnt lgkmcnt(0)                                       // 00000000808C: BF8CC07F
	s_barrier                                                  // 000000008090: BF8A0000
	ds_read_b32 v80, v21                                       // 000000008094: D86C0000 50000015
	ds_read_b32 v81, v21 offset:64                             // 00000000809C: D86C0040 51000015
	ds_read_b32 v84, v21 offset:2176                           // 0000000080A4: D86C0880 54000015
	ds_read_b32 v85, v21 offset:2240                           // 0000000080AC: D86C08C0 55000015
	ds_read_b32 v88, v21 offset:4352                           // 0000000080B4: D86C1100 58000015
	ds_read_b32 v89, v21 offset:4416                           // 0000000080BC: D86C1140 59000015
	ds_read_b32 v92, v21 offset:6528                           // 0000000080C4: D86C1980 5C000015
	ds_read_b32 v93, v21 offset:6592                           // 0000000080CC: D86C19C0 5D000015
	ds_read_b32 v96, v21 offset:8704                           // 0000000080D4: D86C2200 60000015
	ds_read_b32 v97, v21 offset:8768                           // 0000000080DC: D86C2240 61000015
	ds_read_b32 v100, v21 offset:10880                         // 0000000080E4: D86C2A80 64000015
	ds_read_b32 v101, v21 offset:10944                         // 0000000080EC: D86C2AC0 65000015
	ds_read_b32 v104, v21 offset:13056                         // 0000000080F4: D86C3300 68000015
	ds_read_b32 v105, v21 offset:13120                         // 0000000080FC: D86C3340 69000015
	ds_read_b32 v108, v21 offset:15232                         // 000000008104: D86C3B80 6C000015
	ds_read_b32 v109, v21 offset:15296                         // 00000000810C: D86C3BC0 6D000015
	ds_read_b32 v112, v21 offset:17408                         // 000000008114: D86C4400 70000015
	ds_read_b32 v113, v21 offset:17472                         // 00000000811C: D86C4440 71000015
	ds_read_b32 v116, v21 offset:19584                         // 000000008124: D86C4C80 74000015
	ds_read_b32 v117, v21 offset:19648                         // 00000000812C: D86C4CC0 75000015
	ds_read_b32 v120, v21 offset:21760                         // 000000008134: D86C5500 78000015
	ds_read_b32 v121, v21 offset:21824                         // 00000000813C: D86C5540 79000015
	ds_read_b32 v124, v21 offset:23936                         // 000000008144: D86C5D80 7C000015
	ds_read_b32 v125, v21 offset:24000                         // 00000000814C: D86C5DC0 7D000015
	ds_read_b32 v128, v21 offset:26112                         // 000000008154: D86C6600 80000015
	ds_read_b32 v129, v21 offset:26176                         // 00000000815C: D86C6640 81000015
	ds_read_b32 v132, v21 offset:28288                         // 000000008164: D86C6E80 84000015
	ds_read_b32 v133, v21 offset:28352                         // 00000000816C: D86C6EC0 85000015
	ds_read_b32 v136, v21 offset:30464                         // 000000008174: D86C7700 88000015
	ds_read_b32 v137, v21 offset:30528                         // 00000000817C: D86C7740 89000015
	ds_read_b32 v140, v21 offset:32640                         // 000000008184: D86C7F80 8C000015
	ds_read_b32 v141, v21 offset:32704                         // 00000000818C: D86C7FC0 8D000015
	s_waitcnt lgkmcnt(0)                                       // 000000008194: BF8CC07F
	s_mov_b32 s36, -1                                          // 000000008198: BEA400C1
	s_mov_b32 s37, -1                                          // 00000000819C: BEA500C1
	v_mov_b32_e32 v7, 0                                        // 0000000081A0: 7E0E0280
	s_mov_b64 exec, s[36:37]                                   // 0000000081A4: BEFE0124
	v_mov_b32_e32 v6, v60                                      // 0000000081A8: 7E0C033C
	s_mov_b64 s[60:61], 0                                      // 0000000081AC: BEBC0180
	v_readlane_b32 s82, v3, 0                                  // 0000000081B0: D2890052 00010103
	s_and_b32 s82, s82, 0xffffff                               // 0000000081B8: 8652FF52 00FFFFFF
	s_cmp_lt_u32 s82, s66                                      // 0000000081C0: BF0A4252
	s_cselect_b32 s20, s36, s60                                // 0000000081C4: 85143C24
	v_readlane_b32 s82, v3, 1                                  // 0000000081C8: D2890052 00010303
	s_and_b32 s82, s82, 0xffffff                               // 0000000081D0: 8652FF52 00FFFFFF
	s_cmp_lt_u32 s82, s66                                      // 0000000081D8: BF0A4252
	s_cselect_b32 s21, s36, s60                                // 0000000081DC: 85153C24
	s_mov_b64 exec, s[20:21]                                   // 0000000081E0: BEFE0114
	global_atomic_add_f32 v6, v80, s[8:9]                      // 0000000081E4: DD348000 00085006
	global_atomic_add_f32 v6, v84, s[8:9] offset:256           // 0000000081EC: DD348100 00085406
	s_mov_b64 exec, s[36:37]                                   // 0000000081F4: BEFE0124
	v_mov_b32_e32 v6, v61                                      // 0000000081F8: 7E0C033D
	s_mov_b64 s[60:61], 0                                      // 0000000081FC: BEBC0180
	v_readlane_b32 s82, v3, 2                                  // 000000008200: D2890052 00010503
	s_and_b32 s82, s82, 0xffffff                               // 000000008208: 8652FF52 00FFFFFF
	s_cmp_lt_u32 s82, s66                                      // 000000008210: BF0A4252
	s_cselect_b32 s20, s36, s60                                // 000000008214: 85143C24
	v_readlane_b32 s82, v3, 3                                  // 000000008218: D2890052 00010703
	s_and_b32 s82, s82, 0xffffff                               // 000000008220: 8652FF52 00FFFFFF
	s_cmp_lt_u32 s82, s66                                      // 000000008228: BF0A4252
	s_cselect_b32 s21, s36, s60                                // 00000000822C: 85153C24
	s_mov_b64 exec, s[20:21]                                   // 000000008230: BEFE0114
	global_atomic_add_f32 v6, v81, s[8:9]                      // 000000008234: DD348000 00085106
	global_atomic_add_f32 v6, v85, s[8:9] offset:256           // 00000000823C: DD348100 00085506
	s_mov_b64 exec, s[36:37]                                   // 000000008244: BEFE0124
	v_mov_b32_e32 v6, v62                                      // 000000008248: 7E0C033E
	s_mov_b64 s[60:61], 0                                      // 00000000824C: BEBC0180
	v_readlane_b32 s82, v3, 4                                  // 000000008250: D2890052 00010903
	s_and_b32 s82, s82, 0xffffff                               // 000000008258: 8652FF52 00FFFFFF
	s_cmp_lt_u32 s82, s66                                      // 000000008260: BF0A4252
	s_cselect_b32 s20, s36, s60                                // 000000008264: 85143C24
	v_readlane_b32 s82, v3, 5                                  // 000000008268: D2890052 00010B03
	s_and_b32 s82, s82, 0xffffff                               // 000000008270: 8652FF52 00FFFFFF
	s_cmp_lt_u32 s82, s66                                      // 000000008278: BF0A4252
	s_cselect_b32 s21, s36, s60                                // 00000000827C: 85153C24
	s_mov_b64 exec, s[20:21]                                   // 000000008280: BEFE0114
	global_atomic_add_f32 v6, v88, s[8:9]                      // 000000008284: DD348000 00085806
	global_atomic_add_f32 v6, v92, s[8:9] offset:256           // 00000000828C: DD348100 00085C06
	s_mov_b64 exec, s[36:37]                                   // 000000008294: BEFE0124
	v_mov_b32_e32 v6, v63                                      // 000000008298: 7E0C033F
	s_mov_b64 s[60:61], 0                                      // 00000000829C: BEBC0180
	v_readlane_b32 s82, v3, 6                                  // 0000000082A0: D2890052 00010D03
	s_and_b32 s82, s82, 0xffffff                               // 0000000082A8: 8652FF52 00FFFFFF
	s_cmp_lt_u32 s82, s66                                      // 0000000082B0: BF0A4252
	s_cselect_b32 s20, s36, s60                                // 0000000082B4: 85143C24
	v_readlane_b32 s82, v3, 7                                  // 0000000082B8: D2890052 00010F03
	s_and_b32 s82, s82, 0xffffff                               // 0000000082C0: 8652FF52 00FFFFFF
	s_cmp_lt_u32 s82, s66                                      // 0000000082C8: BF0A4252
	s_cselect_b32 s21, s36, s60                                // 0000000082CC: 85153C24
	s_mov_b64 exec, s[20:21]                                   // 0000000082D0: BEFE0114
	global_atomic_add_f32 v6, v89, s[8:9]                      // 0000000082D4: DD348000 00085906
	global_atomic_add_f32 v6, v93, s[8:9] offset:256           // 0000000082DC: DD348100 00085D06
	s_mov_b64 exec, s[36:37]                                   // 0000000082E4: BEFE0124
	v_mov_b32_e32 v6, v64                                      // 0000000082E8: 7E0C0340
	s_mov_b64 s[60:61], 0                                      // 0000000082EC: BEBC0180
	v_readlane_b32 s82, v3, 8                                  // 0000000082F0: D2890052 00011103
	s_and_b32 s82, s82, 0xffffff                               // 0000000082F8: 8652FF52 00FFFFFF
	s_cmp_lt_u32 s82, s66                                      // 000000008300: BF0A4252
	s_cselect_b32 s20, s36, s60                                // 000000008304: 85143C24
	v_readlane_b32 s82, v3, 9                                  // 000000008308: D2890052 00011303
	s_and_b32 s82, s82, 0xffffff                               // 000000008310: 8652FF52 00FFFFFF
	s_cmp_lt_u32 s82, s66                                      // 000000008318: BF0A4252
	s_cselect_b32 s21, s36, s60                                // 00000000831C: 85153C24
	s_mov_b64 exec, s[20:21]                                   // 000000008320: BEFE0114
	global_atomic_add_f32 v6, v96, s[8:9]                      // 000000008324: DD348000 00086006
	global_atomic_add_f32 v6, v100, s[8:9] offset:256          // 00000000832C: DD348100 00086406
	s_mov_b64 exec, s[36:37]                                   // 000000008334: BEFE0124
	v_mov_b32_e32 v6, v65                                      // 000000008338: 7E0C0341
	s_mov_b64 s[60:61], 0                                      // 00000000833C: BEBC0180
	v_readlane_b32 s82, v3, 10                                 // 000000008340: D2890052 00011503
	s_and_b32 s82, s82, 0xffffff                               // 000000008348: 8652FF52 00FFFFFF
	s_cmp_lt_u32 s82, s66                                      // 000000008350: BF0A4252
	s_cselect_b32 s20, s36, s60                                // 000000008354: 85143C24
	v_readlane_b32 s82, v3, 11                                 // 000000008358: D2890052 00011703
	s_and_b32 s82, s82, 0xffffff                               // 000000008360: 8652FF52 00FFFFFF
	s_cmp_lt_u32 s82, s66                                      // 000000008368: BF0A4252
	s_cselect_b32 s21, s36, s60                                // 00000000836C: 85153C24
	s_mov_b64 exec, s[20:21]                                   // 000000008370: BEFE0114
	global_atomic_add_f32 v6, v97, s[8:9]                      // 000000008374: DD348000 00086106
	global_atomic_add_f32 v6, v101, s[8:9] offset:256          // 00000000837C: DD348100 00086506
	s_mov_b64 exec, s[36:37]                                   // 000000008384: BEFE0124
	v_mov_b32_e32 v6, v66                                      // 000000008388: 7E0C0342
	s_mov_b64 s[60:61], 0                                      // 00000000838C: BEBC0180
	v_readlane_b32 s82, v3, 12                                 // 000000008390: D2890052 00011903
	s_and_b32 s82, s82, 0xffffff                               // 000000008398: 8652FF52 00FFFFFF
	s_cmp_lt_u32 s82, s66                                      // 0000000083A0: BF0A4252
	s_cselect_b32 s20, s36, s60                                // 0000000083A4: 85143C24
	v_readlane_b32 s82, v3, 13                                 // 0000000083A8: D2890052 00011B03
	s_and_b32 s82, s82, 0xffffff                               // 0000000083B0: 8652FF52 00FFFFFF
	s_cmp_lt_u32 s82, s66                                      // 0000000083B8: BF0A4252
	s_cselect_b32 s21, s36, s60                                // 0000000083BC: 85153C24
	s_mov_b64 exec, s[20:21]                                   // 0000000083C0: BEFE0114
	global_atomic_add_f32 v6, v104, s[8:9]                     // 0000000083C4: DD348000 00086806
	global_atomic_add_f32 v6, v108, s[8:9] offset:256          // 0000000083CC: DD348100 00086C06
	s_mov_b64 exec, s[36:37]                                   // 0000000083D4: BEFE0124
	v_mov_b32_e32 v6, v67                                      // 0000000083D8: 7E0C0343
	s_mov_b64 s[60:61], 0                                      // 0000000083DC: BEBC0180
	v_readlane_b32 s82, v3, 14                                 // 0000000083E0: D2890052 00011D03
	s_and_b32 s82, s82, 0xffffff                               // 0000000083E8: 8652FF52 00FFFFFF
	s_cmp_lt_u32 s82, s66                                      // 0000000083F0: BF0A4252
	s_cselect_b32 s20, s36, s60                                // 0000000083F4: 85143C24
	v_readlane_b32 s82, v3, 15                                 // 0000000083F8: D2890052 00011F03
	s_and_b32 s82, s82, 0xffffff                               // 000000008400: 8652FF52 00FFFFFF
	s_cmp_lt_u32 s82, s66                                      // 000000008408: BF0A4252
	s_cselect_b32 s21, s36, s60                                // 00000000840C: 85153C24
	s_mov_b64 exec, s[20:21]                                   // 000000008410: BEFE0114
	global_atomic_add_f32 v6, v105, s[8:9]                     // 000000008414: DD348000 00086906
	global_atomic_add_f32 v6, v109, s[8:9] offset:256          // 00000000841C: DD348100 00086D06
	s_mov_b64 exec, s[36:37]                                   // 000000008424: BEFE0124
	v_mov_b32_e32 v6, v68                                      // 000000008428: 7E0C0344
	s_mov_b64 s[60:61], 0                                      // 00000000842C: BEBC0180
	v_readlane_b32 s82, v3, 16                                 // 000000008430: D2890052 00012103
	s_and_b32 s82, s82, 0xffffff                               // 000000008438: 8652FF52 00FFFFFF
	s_cmp_lt_u32 s82, s66                                      // 000000008440: BF0A4252
	s_cselect_b32 s20, s36, s60                                // 000000008444: 85143C24
	v_readlane_b32 s82, v3, 17                                 // 000000008448: D2890052 00012303
	s_and_b32 s82, s82, 0xffffff                               // 000000008450: 8652FF52 00FFFFFF
	s_cmp_lt_u32 s82, s66                                      // 000000008458: BF0A4252
	s_cselect_b32 s21, s36, s60                                // 00000000845C: 85153C24
	s_mov_b64 exec, s[20:21]                                   // 000000008460: BEFE0114
	global_atomic_add_f32 v6, v112, s[8:9]                     // 000000008464: DD348000 00087006
	global_atomic_add_f32 v6, v116, s[8:9] offset:256          // 00000000846C: DD348100 00087406
	s_mov_b64 exec, s[36:37]                                   // 000000008474: BEFE0124
	v_mov_b32_e32 v6, v69                                      // 000000008478: 7E0C0345
	s_mov_b64 s[60:61], 0                                      // 00000000847C: BEBC0180
	v_readlane_b32 s82, v3, 18                                 // 000000008480: D2890052 00012503
	s_and_b32 s82, s82, 0xffffff                               // 000000008488: 8652FF52 00FFFFFF
	s_cmp_lt_u32 s82, s66                                      // 000000008490: BF0A4252
	s_cselect_b32 s20, s36, s60                                // 000000008494: 85143C24
	v_readlane_b32 s82, v3, 19                                 // 000000008498: D2890052 00012703
	s_and_b32 s82, s82, 0xffffff                               // 0000000084A0: 8652FF52 00FFFFFF
	s_cmp_lt_u32 s82, s66                                      // 0000000084A8: BF0A4252
	s_cselect_b32 s21, s36, s60                                // 0000000084AC: 85153C24
	s_mov_b64 exec, s[20:21]                                   // 0000000084B0: BEFE0114
	global_atomic_add_f32 v6, v113, s[8:9]                     // 0000000084B4: DD348000 00087106
	global_atomic_add_f32 v6, v117, s[8:9] offset:256          // 0000000084BC: DD348100 00087506
	s_mov_b64 exec, s[36:37]                                   // 0000000084C4: BEFE0124
	v_mov_b32_e32 v6, v70                                      // 0000000084C8: 7E0C0346
	s_mov_b64 s[60:61], 0                                      // 0000000084CC: BEBC0180
	v_readlane_b32 s82, v3, 20                                 // 0000000084D0: D2890052 00012903
	s_and_b32 s82, s82, 0xffffff                               // 0000000084D8: 8652FF52 00FFFFFF
	s_cmp_lt_u32 s82, s66                                      // 0000000084E0: BF0A4252
	s_cselect_b32 s20, s36, s60                                // 0000000084E4: 85143C24
	v_readlane_b32 s82, v3, 21                                 // 0000000084E8: D2890052 00012B03
	s_and_b32 s82, s82, 0xffffff                               // 0000000084F0: 8652FF52 00FFFFFF
	s_cmp_lt_u32 s82, s66                                      // 0000000084F8: BF0A4252
	s_cselect_b32 s21, s36, s60                                // 0000000084FC: 85153C24
	s_mov_b64 exec, s[20:21]                                   // 000000008500: BEFE0114
	global_atomic_add_f32 v6, v120, s[8:9]                     // 000000008504: DD348000 00087806
	global_atomic_add_f32 v6, v124, s[8:9] offset:256          // 00000000850C: DD348100 00087C06
	s_mov_b64 exec, s[36:37]                                   // 000000008514: BEFE0124
	v_mov_b32_e32 v6, v71                                      // 000000008518: 7E0C0347
	s_mov_b64 s[60:61], 0                                      // 00000000851C: BEBC0180
	v_readlane_b32 s82, v3, 22                                 // 000000008520: D2890052 00012D03
	s_and_b32 s82, s82, 0xffffff                               // 000000008528: 8652FF52 00FFFFFF
	s_cmp_lt_u32 s82, s66                                      // 000000008530: BF0A4252
	s_cselect_b32 s20, s36, s60                                // 000000008534: 85143C24
	v_readlane_b32 s82, v3, 23                                 // 000000008538: D2890052 00012F03
	s_and_b32 s82, s82, 0xffffff                               // 000000008540: 8652FF52 00FFFFFF
	s_cmp_lt_u32 s82, s66                                      // 000000008548: BF0A4252
	s_cselect_b32 s21, s36, s60                                // 00000000854C: 85153C24
	s_mov_b64 exec, s[20:21]                                   // 000000008550: BEFE0114
	global_atomic_add_f32 v6, v121, s[8:9]                     // 000000008554: DD348000 00087906
	global_atomic_add_f32 v6, v125, s[8:9] offset:256          // 00000000855C: DD348100 00087D06
	s_mov_b64 exec, s[36:37]                                   // 000000008564: BEFE0124
	v_mov_b32_e32 v6, v72                                      // 000000008568: 7E0C0348
	s_mov_b64 s[60:61], 0                                      // 00000000856C: BEBC0180
	v_readlane_b32 s82, v3, 24                                 // 000000008570: D2890052 00013103
	s_and_b32 s82, s82, 0xffffff                               // 000000008578: 8652FF52 00FFFFFF
	s_cmp_lt_u32 s82, s66                                      // 000000008580: BF0A4252
	s_cselect_b32 s20, s36, s60                                // 000000008584: 85143C24
	v_readlane_b32 s82, v3, 25                                 // 000000008588: D2890052 00013303
	s_and_b32 s82, s82, 0xffffff                               // 000000008590: 8652FF52 00FFFFFF
	s_cmp_lt_u32 s82, s66                                      // 000000008598: BF0A4252
	s_cselect_b32 s21, s36, s60                                // 00000000859C: 85153C24
	s_mov_b64 exec, s[20:21]                                   // 0000000085A0: BEFE0114
	global_atomic_add_f32 v6, v128, s[8:9]                     // 0000000085A4: DD348000 00088006
	global_atomic_add_f32 v6, v132, s[8:9] offset:256          // 0000000085AC: DD348100 00088406
	s_mov_b64 exec, s[36:37]                                   // 0000000085B4: BEFE0124
	v_mov_b32_e32 v6, v73                                      // 0000000085B8: 7E0C0349
	s_mov_b64 s[60:61], 0                                      // 0000000085BC: BEBC0180
	v_readlane_b32 s82, v3, 26                                 // 0000000085C0: D2890052 00013503
	s_and_b32 s82, s82, 0xffffff                               // 0000000085C8: 8652FF52 00FFFFFF
	s_cmp_lt_u32 s82, s66                                      // 0000000085D0: BF0A4252
	s_cselect_b32 s20, s36, s60                                // 0000000085D4: 85143C24
	v_readlane_b32 s82, v3, 27                                 // 0000000085D8: D2890052 00013703
	s_and_b32 s82, s82, 0xffffff                               // 0000000085E0: 8652FF52 00FFFFFF
	s_cmp_lt_u32 s82, s66                                      // 0000000085E8: BF0A4252
	s_cselect_b32 s21, s36, s60                                // 0000000085EC: 85153C24
	s_mov_b64 exec, s[20:21]                                   // 0000000085F0: BEFE0114
	global_atomic_add_f32 v6, v129, s[8:9]                     // 0000000085F4: DD348000 00088106
	global_atomic_add_f32 v6, v133, s[8:9] offset:256          // 0000000085FC: DD348100 00088506
	s_mov_b64 exec, s[36:37]                                   // 000000008604: BEFE0124
	v_mov_b32_e32 v6, v74                                      // 000000008608: 7E0C034A
	s_mov_b64 s[60:61], 0                                      // 00000000860C: BEBC0180
	v_readlane_b32 s82, v3, 28                                 // 000000008610: D2890052 00013903
	s_and_b32 s82, s82, 0xffffff                               // 000000008618: 8652FF52 00FFFFFF
	s_cmp_lt_u32 s82, s66                                      // 000000008620: BF0A4252
	s_cselect_b32 s20, s36, s60                                // 000000008624: 85143C24
	v_readlane_b32 s82, v3, 29                                 // 000000008628: D2890052 00013B03
	s_and_b32 s82, s82, 0xffffff                               // 000000008630: 8652FF52 00FFFFFF
	s_cmp_lt_u32 s82, s66                                      // 000000008638: BF0A4252
	s_cselect_b32 s21, s36, s60                                // 00000000863C: 85153C24
	s_mov_b64 exec, s[20:21]                                   // 000000008640: BEFE0114
	global_atomic_add_f32 v6, v136, s[8:9]                     // 000000008644: DD348000 00088806
	global_atomic_add_f32 v6, v140, s[8:9] offset:256          // 00000000864C: DD348100 00088C06
	s_mov_b64 exec, s[36:37]                                   // 000000008654: BEFE0124
	v_mov_b32_e32 v6, v75                                      // 000000008658: 7E0C034B
	s_mov_b64 s[60:61], 0                                      // 00000000865C: BEBC0180
	v_readlane_b32 s82, v3, 30                                 // 000000008660: D2890052 00013D03
	s_and_b32 s82, s82, 0xffffff                               // 000000008668: 8652FF52 00FFFFFF
	s_cmp_lt_u32 s82, s66                                      // 000000008670: BF0A4252
	s_cselect_b32 s20, s36, s60                                // 000000008674: 85143C24
	v_readlane_b32 s82, v3, 31                                 // 000000008678: D2890052 00013F03
	s_and_b32 s82, s82, 0xffffff                               // 000000008680: 8652FF52 00FFFFFF
	s_cmp_lt_u32 s82, s66                                      // 000000008688: BF0A4252
	s_cselect_b32 s21, s36, s60                                // 00000000868C: 85153C24
	s_mov_b64 exec, s[20:21]                                   // 000000008690: BEFE0114
	global_atomic_add_f32 v6, v137, s[8:9]                     // 000000008694: DD348000 00088906
	global_atomic_add_f32 v6, v141, s[8:9] offset:256          // 00000000869C: DD348100 00088D06
	s_mov_b64 exec, s[36:37]                                   // 0000000086A4: BEFE0124
	ds_write_b64 v20, v[82:83]                                 // 0000000086A8: D89A0000 00005214
	ds_write_b64 v20, v[86:87] offset:4352                     // 0000000086B0: D89A1100 00005614
	ds_write_b64 v20, v[90:91] offset:8704                     // 0000000086B8: D89A2200 00005A14
	ds_write_b64 v20, v[94:95] offset:13056                    // 0000000086C0: D89A3300 00005E14
	ds_write_b64 v20, v[98:99] offset:17408                    // 0000000086C8: D89A4400 00006214
	ds_write_b64 v20, v[102:103] offset:21760                  // 0000000086D0: D89A5500 00006614
	ds_write_b64 v20, v[106:107] offset:26112                  // 0000000086D8: D89A6600 00006A14
	ds_write_b64 v20, v[110:111] offset:30464                  // 0000000086E0: D89A7700 00006E14
	ds_write_b64 v20, v[114:115] offset:2176                   // 0000000086E8: D89A0880 00007214
	ds_write_b64 v20, v[118:119] offset:6528                   // 0000000086F0: D89A1980 00007614
	ds_write_b64 v20, v[122:123] offset:10880                  // 0000000086F8: D89A2A80 00007A14
	ds_write_b64 v20, v[126:127] offset:15232                  // 000000008700: D89A3B80 00007E14
	ds_write_b64 v20, v[130:131] offset:19584                  // 000000008708: D89A4C80 00008214
	ds_write_b64 v20, v[134:135] offset:23936                  // 000000008710: D89A5D80 00008614
	ds_write_b64 v20, v[138:139] offset:28288                  // 000000008718: D89A6E80 00008A14
	ds_write_b64 v20, v[142:143] offset:32640                  // 000000008720: D89A7F80 00008E14
	s_waitcnt lgkmcnt(0)                                       // 000000008728: BF8CC07F
	s_barrier                                                  // 00000000872C: BF8A0000
	ds_read_b32 v82, v21                                       // 000000008730: D86C0000 52000015
	ds_read_b32 v83, v21 offset:64                             // 000000008738: D86C0040 53000015
	ds_read_b32 v86, v21 offset:2176                           // 000000008740: D86C0880 56000015
	ds_read_b32 v87, v21 offset:2240                           // 000000008748: D86C08C0 57000015
	ds_read_b32 v90, v21 offset:4352                           // 000000008750: D86C1100 5A000015
	ds_read_b32 v91, v21 offset:4416                           // 000000008758: D86C1140 5B000015
	ds_read_b32 v94, v21 offset:6528                           // 000000008760: D86C1980 5E000015
	ds_read_b32 v95, v21 offset:6592                           // 000000008768: D86C19C0 5F000015
	ds_read_b32 v98, v21 offset:8704                           // 000000008770: D86C2200 62000015
	ds_read_b32 v99, v21 offset:8768                           // 000000008778: D86C2240 63000015
	ds_read_b32 v102, v21 offset:10880                         // 000000008780: D86C2A80 66000015
	ds_read_b32 v103, v21 offset:10944                         // 000000008788: D86C2AC0 67000015
	ds_read_b32 v106, v21 offset:13056                         // 000000008790: D86C3300 6A000015
	ds_read_b32 v107, v21 offset:13120                         // 000000008798: D86C3340 6B000015
	ds_read_b32 v110, v21 offset:15232                         // 0000000087A0: D86C3B80 6E000015
	ds_read_b32 v111, v21 offset:15296                         // 0000000087A8: D86C3BC0 6F000015
	ds_read_b32 v114, v21 offset:17408                         // 0000000087B0: D86C4400 72000015
	ds_read_b32 v115, v21 offset:17472                         // 0000000087B8: D86C4440 73000015
	ds_read_b32 v118, v21 offset:19584                         // 0000000087C0: D86C4C80 76000015
	ds_read_b32 v119, v21 offset:19648                         // 0000000087C8: D86C4CC0 77000015
	ds_read_b32 v122, v21 offset:21760                         // 0000000087D0: D86C5500 7A000015
	ds_read_b32 v123, v21 offset:21824                         // 0000000087D8: D86C5540 7B000015
	ds_read_b32 v126, v21 offset:23936                         // 0000000087E0: D86C5D80 7E000015
	ds_read_b32 v127, v21 offset:24000                         // 0000000087E8: D86C5DC0 7F000015
	ds_read_b32 v130, v21 offset:26112                         // 0000000087F0: D86C6600 82000015
	ds_read_b32 v131, v21 offset:26176                         // 0000000087F8: D86C6640 83000015
	ds_read_b32 v134, v21 offset:28288                         // 000000008800: D86C6E80 86000015
	ds_read_b32 v135, v21 offset:28352                         // 000000008808: D86C6EC0 87000015
	ds_read_b32 v138, v21 offset:30464                         // 000000008810: D86C7700 8A000015
	ds_read_b32 v139, v21 offset:30528                         // 000000008818: D86C7740 8B000015
	ds_read_b32 v142, v21 offset:32640                         // 000000008820: D86C7F80 8E000015
	ds_read_b32 v143, v21 offset:32704                         // 000000008828: D86C7FC0 8F000015
	s_waitcnt lgkmcnt(0)                                       // 000000008830: BF8CC07F
	v_mov_b32_e32 v7, 0                                        // 000000008834: 7E0E0280
	s_mov_b64 exec, s[36:37]                                   // 000000008838: BEFE0124
	v_mov_b32_e32 v6, v60                                      // 00000000883C: 7E0C033C
	s_mov_b64 s[60:61], 0                                      // 000000008840: BEBC0180
	v_readlane_b32 s82, v3, 0                                  // 000000008844: D2890052 00010103
	s_and_b32 s82, s82, 0xffffff                               // 00000000884C: 8652FF52 00FFFFFF
	s_cmp_lt_u32 s82, s66                                      // 000000008854: BF0A4252
	s_cselect_b32 s20, s36, s60                                // 000000008858: 85143C24
	v_readlane_b32 s82, v3, 1                                  // 00000000885C: D2890052 00010303
	s_and_b32 s82, s82, 0xffffff                               // 000000008864: 8652FF52 00FFFFFF
	s_cmp_lt_u32 s82, s66                                      // 00000000886C: BF0A4252
	s_cselect_b32 s21, s36, s60                                // 000000008870: 85153C24
	s_mov_b64 exec, s[20:21]                                   // 000000008874: BEFE0114
	global_atomic_add_f32 v6, v82, s[8:9] offset:8             // 000000008878: DD348008 00085206
	global_atomic_add_f32 v6, v86, s[8:9] offset:264           // 000000008880: DD348108 00085606
	s_mov_b64 exec, s[36:37]                                   // 000000008888: BEFE0124
	v_mov_b32_e32 v6, v61                                      // 00000000888C: 7E0C033D
	s_mov_b64 s[60:61], 0                                      // 000000008890: BEBC0180
	v_readlane_b32 s82, v3, 2                                  // 000000008894: D2890052 00010503
	s_and_b32 s82, s82, 0xffffff                               // 00000000889C: 8652FF52 00FFFFFF
	s_cmp_lt_u32 s82, s66                                      // 0000000088A4: BF0A4252
	s_cselect_b32 s20, s36, s60                                // 0000000088A8: 85143C24
	v_readlane_b32 s82, v3, 3                                  // 0000000088AC: D2890052 00010703
	s_and_b32 s82, s82, 0xffffff                               // 0000000088B4: 8652FF52 00FFFFFF
	s_cmp_lt_u32 s82, s66                                      // 0000000088BC: BF0A4252
	s_cselect_b32 s21, s36, s60                                // 0000000088C0: 85153C24
	s_mov_b64 exec, s[20:21]                                   // 0000000088C4: BEFE0114
	global_atomic_add_f32 v6, v83, s[8:9] offset:8             // 0000000088C8: DD348008 00085306
	global_atomic_add_f32 v6, v87, s[8:9] offset:264           // 0000000088D0: DD348108 00085706
	s_mov_b64 exec, s[36:37]                                   // 0000000088D8: BEFE0124
	v_mov_b32_e32 v6, v62                                      // 0000000088DC: 7E0C033E
	s_mov_b64 s[60:61], 0                                      // 0000000088E0: BEBC0180
	v_readlane_b32 s82, v3, 4                                  // 0000000088E4: D2890052 00010903
	s_and_b32 s82, s82, 0xffffff                               // 0000000088EC: 8652FF52 00FFFFFF
	s_cmp_lt_u32 s82, s66                                      // 0000000088F4: BF0A4252
	s_cselect_b32 s20, s36, s60                                // 0000000088F8: 85143C24
	v_readlane_b32 s82, v3, 5                                  // 0000000088FC: D2890052 00010B03
	s_and_b32 s82, s82, 0xffffff                               // 000000008904: 8652FF52 00FFFFFF
	s_cmp_lt_u32 s82, s66                                      // 00000000890C: BF0A4252
	s_cselect_b32 s21, s36, s60                                // 000000008910: 85153C24
	s_mov_b64 exec, s[20:21]                                   // 000000008914: BEFE0114
	global_atomic_add_f32 v6, v90, s[8:9] offset:8             // 000000008918: DD348008 00085A06
	global_atomic_add_f32 v6, v94, s[8:9] offset:264           // 000000008920: DD348108 00085E06
	s_mov_b64 exec, s[36:37]                                   // 000000008928: BEFE0124
	v_mov_b32_e32 v6, v63                                      // 00000000892C: 7E0C033F
	s_mov_b64 s[60:61], 0                                      // 000000008930: BEBC0180
	v_readlane_b32 s82, v3, 6                                  // 000000008934: D2890052 00010D03
	s_and_b32 s82, s82, 0xffffff                               // 00000000893C: 8652FF52 00FFFFFF
	s_cmp_lt_u32 s82, s66                                      // 000000008944: BF0A4252
	s_cselect_b32 s20, s36, s60                                // 000000008948: 85143C24
	v_readlane_b32 s82, v3, 7                                  // 00000000894C: D2890052 00010F03
	s_and_b32 s82, s82, 0xffffff                               // 000000008954: 8652FF52 00FFFFFF
	s_cmp_lt_u32 s82, s66                                      // 00000000895C: BF0A4252
	s_cselect_b32 s21, s36, s60                                // 000000008960: 85153C24
	s_mov_b64 exec, s[20:21]                                   // 000000008964: BEFE0114
	global_atomic_add_f32 v6, v91, s[8:9] offset:8             // 000000008968: DD348008 00085B06
	global_atomic_add_f32 v6, v95, s[8:9] offset:264           // 000000008970: DD348108 00085F06
	s_mov_b64 exec, s[36:37]                                   // 000000008978: BEFE0124
	v_mov_b32_e32 v6, v64                                      // 00000000897C: 7E0C0340
	s_mov_b64 s[60:61], 0                                      // 000000008980: BEBC0180
	v_readlane_b32 s82, v3, 8                                  // 000000008984: D2890052 00011103
	s_and_b32 s82, s82, 0xffffff                               // 00000000898C: 8652FF52 00FFFFFF
	s_cmp_lt_u32 s82, s66                                      // 000000008994: BF0A4252
	s_cselect_b32 s20, s36, s60                                // 000000008998: 85143C24
	v_readlane_b32 s82, v3, 9                                  // 00000000899C: D2890052 00011303
	s_and_b32 s82, s82, 0xffffff                               // 0000000089A4: 8652FF52 00FFFFFF
	s_cmp_lt_u32 s82, s66                                      // 0000000089AC: BF0A4252
	s_cselect_b32 s21, s36, s60                                // 0000000089B0: 85153C24
	s_mov_b64 exec, s[20:21]                                   // 0000000089B4: BEFE0114
	global_atomic_add_f32 v6, v98, s[8:9] offset:8             // 0000000089B8: DD348008 00086206
	global_atomic_add_f32 v6, v102, s[8:9] offset:264          // 0000000089C0: DD348108 00086606
	s_mov_b64 exec, s[36:37]                                   // 0000000089C8: BEFE0124
	v_mov_b32_e32 v6, v65                                      // 0000000089CC: 7E0C0341
	s_mov_b64 s[60:61], 0                                      // 0000000089D0: BEBC0180
	v_readlane_b32 s82, v3, 10                                 // 0000000089D4: D2890052 00011503
	s_and_b32 s82, s82, 0xffffff                               // 0000000089DC: 8652FF52 00FFFFFF
	s_cmp_lt_u32 s82, s66                                      // 0000000089E4: BF0A4252
	s_cselect_b32 s20, s36, s60                                // 0000000089E8: 85143C24
	v_readlane_b32 s82, v3, 11                                 // 0000000089EC: D2890052 00011703
	s_and_b32 s82, s82, 0xffffff                               // 0000000089F4: 8652FF52 00FFFFFF
	s_cmp_lt_u32 s82, s66                                      // 0000000089FC: BF0A4252
	s_cselect_b32 s21, s36, s60                                // 000000008A00: 85153C24
	s_mov_b64 exec, s[20:21]                                   // 000000008A04: BEFE0114
	global_atomic_add_f32 v6, v99, s[8:9] offset:8             // 000000008A08: DD348008 00086306
	global_atomic_add_f32 v6, v103, s[8:9] offset:264          // 000000008A10: DD348108 00086706
	s_mov_b64 exec, s[36:37]                                   // 000000008A18: BEFE0124
	v_mov_b32_e32 v6, v66                                      // 000000008A1C: 7E0C0342
	s_mov_b64 s[60:61], 0                                      // 000000008A20: BEBC0180
	v_readlane_b32 s82, v3, 12                                 // 000000008A24: D2890052 00011903
	s_and_b32 s82, s82, 0xffffff                               // 000000008A2C: 8652FF52 00FFFFFF
	s_cmp_lt_u32 s82, s66                                      // 000000008A34: BF0A4252
	s_cselect_b32 s20, s36, s60                                // 000000008A38: 85143C24
	v_readlane_b32 s82, v3, 13                                 // 000000008A3C: D2890052 00011B03
	s_and_b32 s82, s82, 0xffffff                               // 000000008A44: 8652FF52 00FFFFFF
	s_cmp_lt_u32 s82, s66                                      // 000000008A4C: BF0A4252
	s_cselect_b32 s21, s36, s60                                // 000000008A50: 85153C24
	s_mov_b64 exec, s[20:21]                                   // 000000008A54: BEFE0114
	global_atomic_add_f32 v6, v106, s[8:9] offset:8            // 000000008A58: DD348008 00086A06
	global_atomic_add_f32 v6, v110, s[8:9] offset:264          // 000000008A60: DD348108 00086E06
	s_mov_b64 exec, s[36:37]                                   // 000000008A68: BEFE0124
	v_mov_b32_e32 v6, v67                                      // 000000008A6C: 7E0C0343
	s_mov_b64 s[60:61], 0                                      // 000000008A70: BEBC0180
	v_readlane_b32 s82, v3, 14                                 // 000000008A74: D2890052 00011D03
	s_and_b32 s82, s82, 0xffffff                               // 000000008A7C: 8652FF52 00FFFFFF
	s_cmp_lt_u32 s82, s66                                      // 000000008A84: BF0A4252
	s_cselect_b32 s20, s36, s60                                // 000000008A88: 85143C24
	v_readlane_b32 s82, v3, 15                                 // 000000008A8C: D2890052 00011F03
	s_and_b32 s82, s82, 0xffffff                               // 000000008A94: 8652FF52 00FFFFFF
	s_cmp_lt_u32 s82, s66                                      // 000000008A9C: BF0A4252
	s_cselect_b32 s21, s36, s60                                // 000000008AA0: 85153C24
	s_mov_b64 exec, s[20:21]                                   // 000000008AA4: BEFE0114
	global_atomic_add_f32 v6, v107, s[8:9] offset:8            // 000000008AA8: DD348008 00086B06
	global_atomic_add_f32 v6, v111, s[8:9] offset:264          // 000000008AB0: DD348108 00086F06
	s_mov_b64 exec, s[36:37]                                   // 000000008AB8: BEFE0124
	v_mov_b32_e32 v6, v68                                      // 000000008ABC: 7E0C0344
	s_mov_b64 s[60:61], 0                                      // 000000008AC0: BEBC0180
	v_readlane_b32 s82, v3, 16                                 // 000000008AC4: D2890052 00012103
	s_and_b32 s82, s82, 0xffffff                               // 000000008ACC: 8652FF52 00FFFFFF
	s_cmp_lt_u32 s82, s66                                      // 000000008AD4: BF0A4252
	s_cselect_b32 s20, s36, s60                                // 000000008AD8: 85143C24
	v_readlane_b32 s82, v3, 17                                 // 000000008ADC: D2890052 00012303
	s_and_b32 s82, s82, 0xffffff                               // 000000008AE4: 8652FF52 00FFFFFF
	s_cmp_lt_u32 s82, s66                                      // 000000008AEC: BF0A4252
	s_cselect_b32 s21, s36, s60                                // 000000008AF0: 85153C24
	s_mov_b64 exec, s[20:21]                                   // 000000008AF4: BEFE0114
	global_atomic_add_f32 v6, v114, s[8:9] offset:8            // 000000008AF8: DD348008 00087206
	global_atomic_add_f32 v6, v118, s[8:9] offset:264          // 000000008B00: DD348108 00087606
	s_mov_b64 exec, s[36:37]                                   // 000000008B08: BEFE0124
	v_mov_b32_e32 v6, v69                                      // 000000008B0C: 7E0C0345
	s_mov_b64 s[60:61], 0                                      // 000000008B10: BEBC0180
	v_readlane_b32 s82, v3, 18                                 // 000000008B14: D2890052 00012503
	s_and_b32 s82, s82, 0xffffff                               // 000000008B1C: 8652FF52 00FFFFFF
	s_cmp_lt_u32 s82, s66                                      // 000000008B24: BF0A4252
	s_cselect_b32 s20, s36, s60                                // 000000008B28: 85143C24
	v_readlane_b32 s82, v3, 19                                 // 000000008B2C: D2890052 00012703
	s_and_b32 s82, s82, 0xffffff                               // 000000008B34: 8652FF52 00FFFFFF
	s_cmp_lt_u32 s82, s66                                      // 000000008B3C: BF0A4252
	s_cselect_b32 s21, s36, s60                                // 000000008B40: 85153C24
	s_mov_b64 exec, s[20:21]                                   // 000000008B44: BEFE0114
	global_atomic_add_f32 v6, v115, s[8:9] offset:8            // 000000008B48: DD348008 00087306
	global_atomic_add_f32 v6, v119, s[8:9] offset:264          // 000000008B50: DD348108 00087706
	s_mov_b64 exec, s[36:37]                                   // 000000008B58: BEFE0124
	v_mov_b32_e32 v6, v70                                      // 000000008B5C: 7E0C0346
	s_mov_b64 s[60:61], 0                                      // 000000008B60: BEBC0180
	v_readlane_b32 s82, v3, 20                                 // 000000008B64: D2890052 00012903
	s_and_b32 s82, s82, 0xffffff                               // 000000008B6C: 8652FF52 00FFFFFF
	s_cmp_lt_u32 s82, s66                                      // 000000008B74: BF0A4252
	s_cselect_b32 s20, s36, s60                                // 000000008B78: 85143C24
	v_readlane_b32 s82, v3, 21                                 // 000000008B7C: D2890052 00012B03
	s_and_b32 s82, s82, 0xffffff                               // 000000008B84: 8652FF52 00FFFFFF
	s_cmp_lt_u32 s82, s66                                      // 000000008B8C: BF0A4252
	s_cselect_b32 s21, s36, s60                                // 000000008B90: 85153C24
	s_mov_b64 exec, s[20:21]                                   // 000000008B94: BEFE0114
	global_atomic_add_f32 v6, v122, s[8:9] offset:8            // 000000008B98: DD348008 00087A06
	global_atomic_add_f32 v6, v126, s[8:9] offset:264          // 000000008BA0: DD348108 00087E06
	s_mov_b64 exec, s[36:37]                                   // 000000008BA8: BEFE0124
	v_mov_b32_e32 v6, v71                                      // 000000008BAC: 7E0C0347
	s_mov_b64 s[60:61], 0                                      // 000000008BB0: BEBC0180
	v_readlane_b32 s82, v3, 22                                 // 000000008BB4: D2890052 00012D03
	s_and_b32 s82, s82, 0xffffff                               // 000000008BBC: 8652FF52 00FFFFFF
	s_cmp_lt_u32 s82, s66                                      // 000000008BC4: BF0A4252
	s_cselect_b32 s20, s36, s60                                // 000000008BC8: 85143C24
	v_readlane_b32 s82, v3, 23                                 // 000000008BCC: D2890052 00012F03
	s_and_b32 s82, s82, 0xffffff                               // 000000008BD4: 8652FF52 00FFFFFF
	s_cmp_lt_u32 s82, s66                                      // 000000008BDC: BF0A4252
	s_cselect_b32 s21, s36, s60                                // 000000008BE0: 85153C24
	s_mov_b64 exec, s[20:21]                                   // 000000008BE4: BEFE0114
	global_atomic_add_f32 v6, v123, s[8:9] offset:8            // 000000008BE8: DD348008 00087B06
	global_atomic_add_f32 v6, v127, s[8:9] offset:264          // 000000008BF0: DD348108 00087F06
	s_mov_b64 exec, s[36:37]                                   // 000000008BF8: BEFE0124
	v_mov_b32_e32 v6, v72                                      // 000000008BFC: 7E0C0348
	s_mov_b64 s[60:61], 0                                      // 000000008C00: BEBC0180
	v_readlane_b32 s82, v3, 24                                 // 000000008C04: D2890052 00013103
	s_and_b32 s82, s82, 0xffffff                               // 000000008C0C: 8652FF52 00FFFFFF
	s_cmp_lt_u32 s82, s66                                      // 000000008C14: BF0A4252
	s_cselect_b32 s20, s36, s60                                // 000000008C18: 85143C24
	v_readlane_b32 s82, v3, 25                                 // 000000008C1C: D2890052 00013303
	s_and_b32 s82, s82, 0xffffff                               // 000000008C24: 8652FF52 00FFFFFF
	s_cmp_lt_u32 s82, s66                                      // 000000008C2C: BF0A4252
	s_cselect_b32 s21, s36, s60                                // 000000008C30: 85153C24
	s_mov_b64 exec, s[20:21]                                   // 000000008C34: BEFE0114
	global_atomic_add_f32 v6, v130, s[8:9] offset:8            // 000000008C38: DD348008 00088206
	global_atomic_add_f32 v6, v134, s[8:9] offset:264          // 000000008C40: DD348108 00088606
	s_mov_b64 exec, s[36:37]                                   // 000000008C48: BEFE0124
	v_mov_b32_e32 v6, v73                                      // 000000008C4C: 7E0C0349
	s_mov_b64 s[60:61], 0                                      // 000000008C50: BEBC0180
	v_readlane_b32 s82, v3, 26                                 // 000000008C54: D2890052 00013503
	s_and_b32 s82, s82, 0xffffff                               // 000000008C5C: 8652FF52 00FFFFFF
	s_cmp_lt_u32 s82, s66                                      // 000000008C64: BF0A4252
	s_cselect_b32 s20, s36, s60                                // 000000008C68: 85143C24
	v_readlane_b32 s82, v3, 27                                 // 000000008C6C: D2890052 00013703
	s_and_b32 s82, s82, 0xffffff                               // 000000008C74: 8652FF52 00FFFFFF
	s_cmp_lt_u32 s82, s66                                      // 000000008C7C: BF0A4252
	s_cselect_b32 s21, s36, s60                                // 000000008C80: 85153C24
	s_mov_b64 exec, s[20:21]                                   // 000000008C84: BEFE0114
	global_atomic_add_f32 v6, v131, s[8:9] offset:8            // 000000008C88: DD348008 00088306
	global_atomic_add_f32 v6, v135, s[8:9] offset:264          // 000000008C90: DD348108 00088706
	s_mov_b64 exec, s[36:37]                                   // 000000008C98: BEFE0124
	v_mov_b32_e32 v6, v74                                      // 000000008C9C: 7E0C034A
	s_mov_b64 s[60:61], 0                                      // 000000008CA0: BEBC0180
	v_readlane_b32 s82, v3, 28                                 // 000000008CA4: D2890052 00013903
	s_and_b32 s82, s82, 0xffffff                               // 000000008CAC: 8652FF52 00FFFFFF
	s_cmp_lt_u32 s82, s66                                      // 000000008CB4: BF0A4252
	s_cselect_b32 s20, s36, s60                                // 000000008CB8: 85143C24
	v_readlane_b32 s82, v3, 29                                 // 000000008CBC: D2890052 00013B03
	s_and_b32 s82, s82, 0xffffff                               // 000000008CC4: 8652FF52 00FFFFFF
	s_cmp_lt_u32 s82, s66                                      // 000000008CCC: BF0A4252
	s_cselect_b32 s21, s36, s60                                // 000000008CD0: 85153C24
	s_mov_b64 exec, s[20:21]                                   // 000000008CD4: BEFE0114
	global_atomic_add_f32 v6, v138, s[8:9] offset:8            // 000000008CD8: DD348008 00088A06
	global_atomic_add_f32 v6, v142, s[8:9] offset:264          // 000000008CE0: DD348108 00088E06
	s_mov_b64 exec, s[36:37]                                   // 000000008CE8: BEFE0124
	v_mov_b32_e32 v6, v75                                      // 000000008CEC: 7E0C034B
	s_mov_b64 s[60:61], 0                                      // 000000008CF0: BEBC0180
	v_readlane_b32 s82, v3, 30                                 // 000000008CF4: D2890052 00013D03
	s_and_b32 s82, s82, 0xffffff                               // 000000008CFC: 8652FF52 00FFFFFF
	s_cmp_lt_u32 s82, s66                                      // 000000008D04: BF0A4252
	s_cselect_b32 s20, s36, s60                                // 000000008D08: 85143C24
	v_readlane_b32 s82, v3, 31                                 // 000000008D0C: D2890052 00013F03
	s_and_b32 s82, s82, 0xffffff                               // 000000008D14: 8652FF52 00FFFFFF
	s_cmp_lt_u32 s82, s66                                      // 000000008D1C: BF0A4252
	s_cselect_b32 s21, s36, s60                                // 000000008D20: 85153C24
	s_mov_b64 exec, s[20:21]                                   // 000000008D24: BEFE0114
	global_atomic_add_f32 v6, v139, s[8:9] offset:8            // 000000008D28: DD348008 00088B06
	global_atomic_add_f32 v6, v143, s[8:9] offset:264          // 000000008D30: DD348108 00088F06
	s_mov_b64 exec, s[36:37]                                   // 000000008D38: BEFE0124
	ds_write_b64 v20, v[144:145]                               // 000000008D3C: D89A0000 00009014
	ds_write_b64 v20, v[148:149] offset:4352                   // 000000008D44: D89A1100 00009414
	ds_write_b64 v20, v[152:153] offset:8704                   // 000000008D4C: D89A2200 00009814
	ds_write_b64 v20, v[156:157] offset:13056                  // 000000008D54: D89A3300 00009C14
	ds_write_b64 v20, v[160:161] offset:17408                  // 000000008D5C: D89A4400 0000A014
	ds_write_b64 v20, v[164:165] offset:21760                  // 000000008D64: D89A5500 0000A414
	ds_write_b64 v20, v[168:169] offset:26112                  // 000000008D6C: D89A6600 0000A814
	ds_write_b64 v20, v[172:173] offset:30464                  // 000000008D74: D89A7700 0000AC14
	ds_write_b64 v20, v[176:177] offset:2176                   // 000000008D7C: D89A0880 0000B014
	ds_write_b64 v20, v[180:181] offset:6528                   // 000000008D84: D89A1980 0000B414
	ds_write_b64 v20, v[184:185] offset:10880                  // 000000008D8C: D89A2A80 0000B814
	ds_write_b64 v20, v[188:189] offset:15232                  // 000000008D94: D89A3B80 0000BC14
	ds_write_b64 v20, v[192:193] offset:19584                  // 000000008D9C: D89A4C80 0000C014
	ds_write_b64 v20, v[196:197] offset:23936                  // 000000008DA4: D89A5D80 0000C414
	ds_write_b64 v20, v[200:201] offset:28288                  // 000000008DAC: D89A6E80 0000C814
	ds_write_b64 v20, v[204:205] offset:32640                  // 000000008DB4: D89A7F80 0000CC14
	s_waitcnt lgkmcnt(0)                                       // 000000008DBC: BF8CC07F
	s_barrier                                                  // 000000008DC0: BF8A0000
	ds_read_b32 v144, v21                                      // 000000008DC4: D86C0000 90000015
	ds_read_b32 v145, v21 offset:64                            // 000000008DCC: D86C0040 91000015
	ds_read_b32 v148, v21 offset:2176                          // 000000008DD4: D86C0880 94000015
	ds_read_b32 v149, v21 offset:2240                          // 000000008DDC: D86C08C0 95000015
	ds_read_b32 v152, v21 offset:4352                          // 000000008DE4: D86C1100 98000015
	ds_read_b32 v153, v21 offset:4416                          // 000000008DEC: D86C1140 99000015
	ds_read_b32 v156, v21 offset:6528                          // 000000008DF4: D86C1980 9C000015
	ds_read_b32 v157, v21 offset:6592                          // 000000008DFC: D86C19C0 9D000015
	ds_read_b32 v160, v21 offset:8704                          // 000000008E04: D86C2200 A0000015
	ds_read_b32 v161, v21 offset:8768                          // 000000008E0C: D86C2240 A1000015
	ds_read_b32 v164, v21 offset:10880                         // 000000008E14: D86C2A80 A4000015
	ds_read_b32 v165, v21 offset:10944                         // 000000008E1C: D86C2AC0 A5000015
	ds_read_b32 v168, v21 offset:13056                         // 000000008E24: D86C3300 A8000015
	ds_read_b32 v169, v21 offset:13120                         // 000000008E2C: D86C3340 A9000015
	ds_read_b32 v172, v21 offset:15232                         // 000000008E34: D86C3B80 AC000015
	ds_read_b32 v173, v21 offset:15296                         // 000000008E3C: D86C3BC0 AD000015
	ds_read_b32 v176, v21 offset:17408                         // 000000008E44: D86C4400 B0000015
	ds_read_b32 v177, v21 offset:17472                         // 000000008E4C: D86C4440 B1000015
	ds_read_b32 v180, v21 offset:19584                         // 000000008E54: D86C4C80 B4000015
	ds_read_b32 v181, v21 offset:19648                         // 000000008E5C: D86C4CC0 B5000015
	ds_read_b32 v184, v21 offset:21760                         // 000000008E64: D86C5500 B8000015
	ds_read_b32 v185, v21 offset:21824                         // 000000008E6C: D86C5540 B9000015
	ds_read_b32 v188, v21 offset:23936                         // 000000008E74: D86C5D80 BC000015
	ds_read_b32 v189, v21 offset:24000                         // 000000008E7C: D86C5DC0 BD000015
	ds_read_b32 v192, v21 offset:26112                         // 000000008E84: D86C6600 C0000015
	ds_read_b32 v193, v21 offset:26176                         // 000000008E8C: D86C6640 C1000015
	ds_read_b32 v196, v21 offset:28288                         // 000000008E94: D86C6E80 C4000015
	ds_read_b32 v197, v21 offset:28352                         // 000000008E9C: D86C6EC0 C5000015
	ds_read_b32 v200, v21 offset:30464                         // 000000008EA4: D86C7700 C8000015
	ds_read_b32 v201, v21 offset:30528                         // 000000008EAC: D86C7740 C9000015
	ds_read_b32 v204, v21 offset:32640                         // 000000008EB4: D86C7F80 CC000015
	ds_read_b32 v205, v21 offset:32704                         // 000000008EBC: D86C7FC0 CD000015
	s_mul_i32 s60, s65, 4                                      // 000000008EC4: 923C8441
	s_add_u32 s8, s60, s8                                      // 000000008EC8: 8008083C
	s_addc_u32 s9, 0, s9                                       // 000000008ECC: 82090980
	s_waitcnt lgkmcnt(0)                                       // 000000008ED0: BF8CC07F
	v_mov_b32_e32 v7, 0                                        // 000000008ED4: 7E0E0280
	s_mov_b64 exec, s[36:37]                                   // 000000008ED8: BEFE0124
	v_mov_b32_e32 v6, v60                                      // 000000008EDC: 7E0C033C
	s_mov_b64 s[60:61], 0                                      // 000000008EE0: BEBC0180
	v_readlane_b32 s82, v3, 0                                  // 000000008EE4: D2890052 00010103
	s_and_b32 s82, s82, 0xffffff                               // 000000008EEC: 8652FF52 00FFFFFF
	s_cmp_lt_u32 s82, s66                                      // 000000008EF4: BF0A4252
	s_cselect_b32 s20, s36, s60                                // 000000008EF8: 85143C24
	v_readlane_b32 s82, v3, 1                                  // 000000008EFC: D2890052 00010303
	s_and_b32 s82, s82, 0xffffff                               // 000000008F04: 8652FF52 00FFFFFF
	s_cmp_lt_u32 s82, s66                                      // 000000008F0C: BF0A4252
	s_cselect_b32 s21, s36, s60                                // 000000008F10: 85153C24
	s_mov_b64 exec, s[20:21]                                   // 000000008F14: BEFE0114
	global_atomic_add_f32 v6, v144, s[8:9]                     // 000000008F18: DD348000 00089006
	global_atomic_add_f32 v6, v148, s[8:9] offset:256          // 000000008F20: DD348100 00089406
	s_mov_b64 exec, s[36:37]                                   // 000000008F28: BEFE0124
	v_mov_b32_e32 v6, v61                                      // 000000008F2C: 7E0C033D
	s_mov_b64 s[60:61], 0                                      // 000000008F30: BEBC0180
	v_readlane_b32 s82, v3, 2                                  // 000000008F34: D2890052 00010503
	s_and_b32 s82, s82, 0xffffff                               // 000000008F3C: 8652FF52 00FFFFFF
	s_cmp_lt_u32 s82, s66                                      // 000000008F44: BF0A4252
	s_cselect_b32 s20, s36, s60                                // 000000008F48: 85143C24
	v_readlane_b32 s82, v3, 3                                  // 000000008F4C: D2890052 00010703
	s_and_b32 s82, s82, 0xffffff                               // 000000008F54: 8652FF52 00FFFFFF
	s_cmp_lt_u32 s82, s66                                      // 000000008F5C: BF0A4252
	s_cselect_b32 s21, s36, s60                                // 000000008F60: 85153C24
	s_mov_b64 exec, s[20:21]                                   // 000000008F64: BEFE0114
	global_atomic_add_f32 v6, v145, s[8:9]                     // 000000008F68: DD348000 00089106
	global_atomic_add_f32 v6, v149, s[8:9] offset:256          // 000000008F70: DD348100 00089506
	s_mov_b64 exec, s[36:37]                                   // 000000008F78: BEFE0124
	v_mov_b32_e32 v6, v62                                      // 000000008F7C: 7E0C033E
	s_mov_b64 s[60:61], 0                                      // 000000008F80: BEBC0180
	v_readlane_b32 s82, v3, 4                                  // 000000008F84: D2890052 00010903
	s_and_b32 s82, s82, 0xffffff                               // 000000008F8C: 8652FF52 00FFFFFF
	s_cmp_lt_u32 s82, s66                                      // 000000008F94: BF0A4252
	s_cselect_b32 s20, s36, s60                                // 000000008F98: 85143C24
	v_readlane_b32 s82, v3, 5                                  // 000000008F9C: D2890052 00010B03
	s_and_b32 s82, s82, 0xffffff                               // 000000008FA4: 8652FF52 00FFFFFF
	s_cmp_lt_u32 s82, s66                                      // 000000008FAC: BF0A4252
	s_cselect_b32 s21, s36, s60                                // 000000008FB0: 85153C24
	s_mov_b64 exec, s[20:21]                                   // 000000008FB4: BEFE0114
	global_atomic_add_f32 v6, v152, s[8:9]                     // 000000008FB8: DD348000 00089806
	global_atomic_add_f32 v6, v156, s[8:9] offset:256          // 000000008FC0: DD348100 00089C06
	s_mov_b64 exec, s[36:37]                                   // 000000008FC8: BEFE0124
	v_mov_b32_e32 v6, v63                                      // 000000008FCC: 7E0C033F
	s_mov_b64 s[60:61], 0                                      // 000000008FD0: BEBC0180
	v_readlane_b32 s82, v3, 6                                  // 000000008FD4: D2890052 00010D03
	s_and_b32 s82, s82, 0xffffff                               // 000000008FDC: 8652FF52 00FFFFFF
	s_cmp_lt_u32 s82, s66                                      // 000000008FE4: BF0A4252
	s_cselect_b32 s20, s36, s60                                // 000000008FE8: 85143C24
	v_readlane_b32 s82, v3, 7                                  // 000000008FEC: D2890052 00010F03
	s_and_b32 s82, s82, 0xffffff                               // 000000008FF4: 8652FF52 00FFFFFF
	s_cmp_lt_u32 s82, s66                                      // 000000008FFC: BF0A4252
	s_cselect_b32 s21, s36, s60                                // 000000009000: 85153C24
	s_mov_b64 exec, s[20:21]                                   // 000000009004: BEFE0114
	global_atomic_add_f32 v6, v153, s[8:9]                     // 000000009008: DD348000 00089906
	global_atomic_add_f32 v6, v157, s[8:9] offset:256          // 000000009010: DD348100 00089D06
	s_mov_b64 exec, s[36:37]                                   // 000000009018: BEFE0124
	v_mov_b32_e32 v6, v64                                      // 00000000901C: 7E0C0340
	s_mov_b64 s[60:61], 0                                      // 000000009020: BEBC0180
	v_readlane_b32 s82, v3, 8                                  // 000000009024: D2890052 00011103
	s_and_b32 s82, s82, 0xffffff                               // 00000000902C: 8652FF52 00FFFFFF
	s_cmp_lt_u32 s82, s66                                      // 000000009034: BF0A4252
	s_cselect_b32 s20, s36, s60                                // 000000009038: 85143C24
	v_readlane_b32 s82, v3, 9                                  // 00000000903C: D2890052 00011303
	s_and_b32 s82, s82, 0xffffff                               // 000000009044: 8652FF52 00FFFFFF
	s_cmp_lt_u32 s82, s66                                      // 00000000904C: BF0A4252
	s_cselect_b32 s21, s36, s60                                // 000000009050: 85153C24
	s_mov_b64 exec, s[20:21]                                   // 000000009054: BEFE0114
	global_atomic_add_f32 v6, v160, s[8:9]                     // 000000009058: DD348000 0008A006
	global_atomic_add_f32 v6, v164, s[8:9] offset:256          // 000000009060: DD348100 0008A406
	s_mov_b64 exec, s[36:37]                                   // 000000009068: BEFE0124
	v_mov_b32_e32 v6, v65                                      // 00000000906C: 7E0C0341
	s_mov_b64 s[60:61], 0                                      // 000000009070: BEBC0180
	v_readlane_b32 s82, v3, 10                                 // 000000009074: D2890052 00011503
	s_and_b32 s82, s82, 0xffffff                               // 00000000907C: 8652FF52 00FFFFFF
	s_cmp_lt_u32 s82, s66                                      // 000000009084: BF0A4252
	s_cselect_b32 s20, s36, s60                                // 000000009088: 85143C24
	v_readlane_b32 s82, v3, 11                                 // 00000000908C: D2890052 00011703
	s_and_b32 s82, s82, 0xffffff                               // 000000009094: 8652FF52 00FFFFFF
	s_cmp_lt_u32 s82, s66                                      // 00000000909C: BF0A4252
	s_cselect_b32 s21, s36, s60                                // 0000000090A0: 85153C24
	s_mov_b64 exec, s[20:21]                                   // 0000000090A4: BEFE0114
	global_atomic_add_f32 v6, v161, s[8:9]                     // 0000000090A8: DD348000 0008A106
	global_atomic_add_f32 v6, v165, s[8:9] offset:256          // 0000000090B0: DD348100 0008A506
	s_mov_b64 exec, s[36:37]                                   // 0000000090B8: BEFE0124
	v_mov_b32_e32 v6, v66                                      // 0000000090BC: 7E0C0342
	s_mov_b64 s[60:61], 0                                      // 0000000090C0: BEBC0180
	v_readlane_b32 s82, v3, 12                                 // 0000000090C4: D2890052 00011903
	s_and_b32 s82, s82, 0xffffff                               // 0000000090CC: 8652FF52 00FFFFFF
	s_cmp_lt_u32 s82, s66                                      // 0000000090D4: BF0A4252
	s_cselect_b32 s20, s36, s60                                // 0000000090D8: 85143C24
	v_readlane_b32 s82, v3, 13                                 // 0000000090DC: D2890052 00011B03
	s_and_b32 s82, s82, 0xffffff                               // 0000000090E4: 8652FF52 00FFFFFF
	s_cmp_lt_u32 s82, s66                                      // 0000000090EC: BF0A4252
	s_cselect_b32 s21, s36, s60                                // 0000000090F0: 85153C24
	s_mov_b64 exec, s[20:21]                                   // 0000000090F4: BEFE0114
	global_atomic_add_f32 v6, v168, s[8:9]                     // 0000000090F8: DD348000 0008A806
	global_atomic_add_f32 v6, v172, s[8:9] offset:256          // 000000009100: DD348100 0008AC06
	s_mov_b64 exec, s[36:37]                                   // 000000009108: BEFE0124
	v_mov_b32_e32 v6, v67                                      // 00000000910C: 7E0C0343
	s_mov_b64 s[60:61], 0                                      // 000000009110: BEBC0180
	v_readlane_b32 s82, v3, 14                                 // 000000009114: D2890052 00011D03
	s_and_b32 s82, s82, 0xffffff                               // 00000000911C: 8652FF52 00FFFFFF
	s_cmp_lt_u32 s82, s66                                      // 000000009124: BF0A4252
	s_cselect_b32 s20, s36, s60                                // 000000009128: 85143C24
	v_readlane_b32 s82, v3, 15                                 // 00000000912C: D2890052 00011F03
	s_and_b32 s82, s82, 0xffffff                               // 000000009134: 8652FF52 00FFFFFF
	s_cmp_lt_u32 s82, s66                                      // 00000000913C: BF0A4252
	s_cselect_b32 s21, s36, s60                                // 000000009140: 85153C24
	s_mov_b64 exec, s[20:21]                                   // 000000009144: BEFE0114
	global_atomic_add_f32 v6, v169, s[8:9]                     // 000000009148: DD348000 0008A906
	global_atomic_add_f32 v6, v173, s[8:9] offset:256          // 000000009150: DD348100 0008AD06
	s_mov_b64 exec, s[36:37]                                   // 000000009158: BEFE0124
	v_mov_b32_e32 v6, v68                                      // 00000000915C: 7E0C0344
	s_mov_b64 s[60:61], 0                                      // 000000009160: BEBC0180
	v_readlane_b32 s82, v3, 16                                 // 000000009164: D2890052 00012103
	s_and_b32 s82, s82, 0xffffff                               // 00000000916C: 8652FF52 00FFFFFF
	s_cmp_lt_u32 s82, s66                                      // 000000009174: BF0A4252
	s_cselect_b32 s20, s36, s60                                // 000000009178: 85143C24
	v_readlane_b32 s82, v3, 17                                 // 00000000917C: D2890052 00012303
	s_and_b32 s82, s82, 0xffffff                               // 000000009184: 8652FF52 00FFFFFF
	s_cmp_lt_u32 s82, s66                                      // 00000000918C: BF0A4252
	s_cselect_b32 s21, s36, s60                                // 000000009190: 85153C24
	s_mov_b64 exec, s[20:21]                                   // 000000009194: BEFE0114
	global_atomic_add_f32 v6, v176, s[8:9]                     // 000000009198: DD348000 0008B006
	global_atomic_add_f32 v6, v180, s[8:9] offset:256          // 0000000091A0: DD348100 0008B406
	s_mov_b64 exec, s[36:37]                                   // 0000000091A8: BEFE0124
	v_mov_b32_e32 v6, v69                                      // 0000000091AC: 7E0C0345
	s_mov_b64 s[60:61], 0                                      // 0000000091B0: BEBC0180
	v_readlane_b32 s82, v3, 18                                 // 0000000091B4: D2890052 00012503
	s_and_b32 s82, s82, 0xffffff                               // 0000000091BC: 8652FF52 00FFFFFF
	s_cmp_lt_u32 s82, s66                                      // 0000000091C4: BF0A4252
	s_cselect_b32 s20, s36, s60                                // 0000000091C8: 85143C24
	v_readlane_b32 s82, v3, 19                                 // 0000000091CC: D2890052 00012703
	s_and_b32 s82, s82, 0xffffff                               // 0000000091D4: 8652FF52 00FFFFFF
	s_cmp_lt_u32 s82, s66                                      // 0000000091DC: BF0A4252
	s_cselect_b32 s21, s36, s60                                // 0000000091E0: 85153C24
	s_mov_b64 exec, s[20:21]                                   // 0000000091E4: BEFE0114
	global_atomic_add_f32 v6, v177, s[8:9]                     // 0000000091E8: DD348000 0008B106
	global_atomic_add_f32 v6, v181, s[8:9] offset:256          // 0000000091F0: DD348100 0008B506
	s_mov_b64 exec, s[36:37]                                   // 0000000091F8: BEFE0124
	v_mov_b32_e32 v6, v70                                      // 0000000091FC: 7E0C0346
	s_mov_b64 s[60:61], 0                                      // 000000009200: BEBC0180
	v_readlane_b32 s82, v3, 20                                 // 000000009204: D2890052 00012903
	s_and_b32 s82, s82, 0xffffff                               // 00000000920C: 8652FF52 00FFFFFF
	s_cmp_lt_u32 s82, s66                                      // 000000009214: BF0A4252
	s_cselect_b32 s20, s36, s60                                // 000000009218: 85143C24
	v_readlane_b32 s82, v3, 21                                 // 00000000921C: D2890052 00012B03
	s_and_b32 s82, s82, 0xffffff                               // 000000009224: 8652FF52 00FFFFFF
	s_cmp_lt_u32 s82, s66                                      // 00000000922C: BF0A4252
	s_cselect_b32 s21, s36, s60                                // 000000009230: 85153C24
	s_mov_b64 exec, s[20:21]                                   // 000000009234: BEFE0114
	global_atomic_add_f32 v6, v184, s[8:9]                     // 000000009238: DD348000 0008B806
	global_atomic_add_f32 v6, v188, s[8:9] offset:256          // 000000009240: DD348100 0008BC06
	s_mov_b64 exec, s[36:37]                                   // 000000009248: BEFE0124
	v_mov_b32_e32 v6, v71                                      // 00000000924C: 7E0C0347
	s_mov_b64 s[60:61], 0                                      // 000000009250: BEBC0180
	v_readlane_b32 s82, v3, 22                                 // 000000009254: D2890052 00012D03
	s_and_b32 s82, s82, 0xffffff                               // 00000000925C: 8652FF52 00FFFFFF
	s_cmp_lt_u32 s82, s66                                      // 000000009264: BF0A4252
	s_cselect_b32 s20, s36, s60                                // 000000009268: 85143C24
	v_readlane_b32 s82, v3, 23                                 // 00000000926C: D2890052 00012F03
	s_and_b32 s82, s82, 0xffffff                               // 000000009274: 8652FF52 00FFFFFF
	s_cmp_lt_u32 s82, s66                                      // 00000000927C: BF0A4252
	s_cselect_b32 s21, s36, s60                                // 000000009280: 85153C24
	s_mov_b64 exec, s[20:21]                                   // 000000009284: BEFE0114
	global_atomic_add_f32 v6, v185, s[8:9]                     // 000000009288: DD348000 0008B906
	global_atomic_add_f32 v6, v189, s[8:9] offset:256          // 000000009290: DD348100 0008BD06
	s_mov_b64 exec, s[36:37]                                   // 000000009298: BEFE0124
	v_mov_b32_e32 v6, v72                                      // 00000000929C: 7E0C0348
	s_mov_b64 s[60:61], 0                                      // 0000000092A0: BEBC0180
	v_readlane_b32 s82, v3, 24                                 // 0000000092A4: D2890052 00013103
	s_and_b32 s82, s82, 0xffffff                               // 0000000092AC: 8652FF52 00FFFFFF
	s_cmp_lt_u32 s82, s66                                      // 0000000092B4: BF0A4252
	s_cselect_b32 s20, s36, s60                                // 0000000092B8: 85143C24
	v_readlane_b32 s82, v3, 25                                 // 0000000092BC: D2890052 00013303
	s_and_b32 s82, s82, 0xffffff                               // 0000000092C4: 8652FF52 00FFFFFF
	s_cmp_lt_u32 s82, s66                                      // 0000000092CC: BF0A4252
	s_cselect_b32 s21, s36, s60                                // 0000000092D0: 85153C24
	s_mov_b64 exec, s[20:21]                                   // 0000000092D4: BEFE0114
	global_atomic_add_f32 v6, v192, s[8:9]                     // 0000000092D8: DD348000 0008C006
	global_atomic_add_f32 v6, v196, s[8:9] offset:256          // 0000000092E0: DD348100 0008C406
	s_mov_b64 exec, s[36:37]                                   // 0000000092E8: BEFE0124
	v_mov_b32_e32 v6, v73                                      // 0000000092EC: 7E0C0349
	s_mov_b64 s[60:61], 0                                      // 0000000092F0: BEBC0180
	v_readlane_b32 s82, v3, 26                                 // 0000000092F4: D2890052 00013503
	s_and_b32 s82, s82, 0xffffff                               // 0000000092FC: 8652FF52 00FFFFFF
	s_cmp_lt_u32 s82, s66                                      // 000000009304: BF0A4252
	s_cselect_b32 s20, s36, s60                                // 000000009308: 85143C24
	v_readlane_b32 s82, v3, 27                                 // 00000000930C: D2890052 00013703
	s_and_b32 s82, s82, 0xffffff                               // 000000009314: 8652FF52 00FFFFFF
	s_cmp_lt_u32 s82, s66                                      // 00000000931C: BF0A4252
	s_cselect_b32 s21, s36, s60                                // 000000009320: 85153C24
	s_mov_b64 exec, s[20:21]                                   // 000000009324: BEFE0114
	global_atomic_add_f32 v6, v193, s[8:9]                     // 000000009328: DD348000 0008C106
	global_atomic_add_f32 v6, v197, s[8:9] offset:256          // 000000009330: DD348100 0008C506
	s_mov_b64 exec, s[36:37]                                   // 000000009338: BEFE0124
	v_mov_b32_e32 v6, v74                                      // 00000000933C: 7E0C034A
	s_mov_b64 s[60:61], 0                                      // 000000009340: BEBC0180
	v_readlane_b32 s82, v3, 28                                 // 000000009344: D2890052 00013903
	s_and_b32 s82, s82, 0xffffff                               // 00000000934C: 8652FF52 00FFFFFF
	s_cmp_lt_u32 s82, s66                                      // 000000009354: BF0A4252
	s_cselect_b32 s20, s36, s60                                // 000000009358: 85143C24
	v_readlane_b32 s82, v3, 29                                 // 00000000935C: D2890052 00013B03
	s_and_b32 s82, s82, 0xffffff                               // 000000009364: 8652FF52 00FFFFFF
	s_cmp_lt_u32 s82, s66                                      // 00000000936C: BF0A4252
	s_cselect_b32 s21, s36, s60                                // 000000009370: 85153C24
	s_mov_b64 exec, s[20:21]                                   // 000000009374: BEFE0114
	global_atomic_add_f32 v6, v200, s[8:9]                     // 000000009378: DD348000 0008C806
	global_atomic_add_f32 v6, v204, s[8:9] offset:256          // 000000009380: DD348100 0008CC06
	s_mov_b64 exec, s[36:37]                                   // 000000009388: BEFE0124
	v_mov_b32_e32 v6, v75                                      // 00000000938C: 7E0C034B
	s_mov_b64 s[60:61], 0                                      // 000000009390: BEBC0180
	v_readlane_b32 s82, v3, 30                                 // 000000009394: D2890052 00013D03
	s_and_b32 s82, s82, 0xffffff                               // 00000000939C: 8652FF52 00FFFFFF
	s_cmp_lt_u32 s82, s66                                      // 0000000093A4: BF0A4252
	s_cselect_b32 s20, s36, s60                                // 0000000093A8: 85143C24
	v_readlane_b32 s82, v3, 31                                 // 0000000093AC: D2890052 00013F03
	s_and_b32 s82, s82, 0xffffff                               // 0000000093B4: 8652FF52 00FFFFFF
	s_cmp_lt_u32 s82, s66                                      // 0000000093BC: BF0A4252
	s_cselect_b32 s21, s36, s60                                // 0000000093C0: 85153C24
	s_mov_b64 exec, s[20:21]                                   // 0000000093C4: BEFE0114
	global_atomic_add_f32 v6, v201, s[8:9]                     // 0000000093C8: DD348000 0008C906
	global_atomic_add_f32 v6, v205, s[8:9] offset:256          // 0000000093D0: DD348100 0008CD06
	s_mov_b64 exec, s[36:37]                                   // 0000000093D8: BEFE0124
	ds_write_b64 v20, v[146:147]                               // 0000000093DC: D89A0000 00009214
	ds_write_b64 v20, v[150:151] offset:4352                   // 0000000093E4: D89A1100 00009614
	ds_write_b64 v20, v[154:155] offset:8704                   // 0000000093EC: D89A2200 00009A14
	ds_write_b64 v20, v[158:159] offset:13056                  // 0000000093F4: D89A3300 00009E14
	ds_write_b64 v20, v[162:163] offset:17408                  // 0000000093FC: D89A4400 0000A214
	ds_write_b64 v20, v[166:167] offset:21760                  // 000000009404: D89A5500 0000A614
	ds_write_b64 v20, v[170:171] offset:26112                  // 00000000940C: D89A6600 0000AA14
	ds_write_b64 v20, v[174:175] offset:30464                  // 000000009414: D89A7700 0000AE14
	ds_write_b64 v20, v[178:179] offset:2176                   // 00000000941C: D89A0880 0000B214
	ds_write_b64 v20, v[182:183] offset:6528                   // 000000009424: D89A1980 0000B614
	ds_write_b64 v20, v[186:187] offset:10880                  // 00000000942C: D89A2A80 0000BA14
	ds_write_b64 v20, v[190:191] offset:15232                  // 000000009434: D89A3B80 0000BE14
	ds_write_b64 v20, v[194:195] offset:19584                  // 00000000943C: D89A4C80 0000C214
	ds_write_b64 v20, v[198:199] offset:23936                  // 000000009444: D89A5D80 0000C614
	ds_write_b64 v20, v[202:203] offset:28288                  // 00000000944C: D89A6E80 0000CA14
	ds_write_b64 v20, v[206:207] offset:32640                  // 000000009454: D89A7F80 0000CE14
	s_waitcnt lgkmcnt(0)                                       // 00000000945C: BF8CC07F
	s_barrier                                                  // 000000009460: BF8A0000
	ds_read_b32 v146, v21                                      // 000000009464: D86C0000 92000015
	ds_read_b32 v147, v21 offset:64                            // 00000000946C: D86C0040 93000015
	ds_read_b32 v150, v21 offset:2176                          // 000000009474: D86C0880 96000015
	ds_read_b32 v151, v21 offset:2240                          // 00000000947C: D86C08C0 97000015
	ds_read_b32 v154, v21 offset:4352                          // 000000009484: D86C1100 9A000015
	ds_read_b32 v155, v21 offset:4416                          // 00000000948C: D86C1140 9B000015
	ds_read_b32 v158, v21 offset:6528                          // 000000009494: D86C1980 9E000015
	ds_read_b32 v159, v21 offset:6592                          // 00000000949C: D86C19C0 9F000015
	ds_read_b32 v162, v21 offset:8704                          // 0000000094A4: D86C2200 A2000015
	ds_read_b32 v163, v21 offset:8768                          // 0000000094AC: D86C2240 A3000015
	ds_read_b32 v166, v21 offset:10880                         // 0000000094B4: D86C2A80 A6000015
	ds_read_b32 v167, v21 offset:10944                         // 0000000094BC: D86C2AC0 A7000015
	ds_read_b32 v170, v21 offset:13056                         // 0000000094C4: D86C3300 AA000015
	ds_read_b32 v171, v21 offset:13120                         // 0000000094CC: D86C3340 AB000015
	ds_read_b32 v174, v21 offset:15232                         // 0000000094D4: D86C3B80 AE000015
	ds_read_b32 v175, v21 offset:15296                         // 0000000094DC: D86C3BC0 AF000015
	ds_read_b32 v178, v21 offset:17408                         // 0000000094E4: D86C4400 B2000015
	ds_read_b32 v179, v21 offset:17472                         // 0000000094EC: D86C4440 B3000015
	ds_read_b32 v182, v21 offset:19584                         // 0000000094F4: D86C4C80 B6000015
	ds_read_b32 v183, v21 offset:19648                         // 0000000094FC: D86C4CC0 B7000015
	ds_read_b32 v186, v21 offset:21760                         // 000000009504: D86C5500 BA000015
	ds_read_b32 v187, v21 offset:21824                         // 00000000950C: D86C5540 BB000015
	ds_read_b32 v190, v21 offset:23936                         // 000000009514: D86C5D80 BE000015
	ds_read_b32 v191, v21 offset:24000                         // 00000000951C: D86C5DC0 BF000015
	ds_read_b32 v194, v21 offset:26112                         // 000000009524: D86C6600 C2000015
	ds_read_b32 v195, v21 offset:26176                         // 00000000952C: D86C6640 C3000015
	ds_read_b32 v198, v21 offset:28288                         // 000000009534: D86C6E80 C6000015
	ds_read_b32 v199, v21 offset:28352                         // 00000000953C: D86C6EC0 C7000015
	ds_read_b32 v202, v21 offset:30464                         // 000000009544: D86C7700 CA000015
	ds_read_b32 v203, v21 offset:30528                         // 00000000954C: D86C7740 CB000015
	ds_read_b32 v206, v21 offset:32640                         // 000000009554: D86C7F80 CE000015
	ds_read_b32 v207, v21 offset:32704                         // 00000000955C: D86C7FC0 CF000015
	s_waitcnt lgkmcnt(0)                                       // 000000009564: BF8CC07F
	v_mov_b32_e32 v7, 0                                        // 000000009568: 7E0E0280
	s_mov_b64 exec, s[36:37]                                   // 00000000956C: BEFE0124
	v_mov_b32_e32 v6, v60                                      // 000000009570: 7E0C033C
	s_mov_b64 s[60:61], 0                                      // 000000009574: BEBC0180
	v_readlane_b32 s82, v3, 0                                  // 000000009578: D2890052 00010103
	s_and_b32 s82, s82, 0xffffff                               // 000000009580: 8652FF52 00FFFFFF
	s_cmp_lt_u32 s82, s66                                      // 000000009588: BF0A4252
	s_cselect_b32 s20, s36, s60                                // 00000000958C: 85143C24
	v_readlane_b32 s82, v3, 1                                  // 000000009590: D2890052 00010303
	s_and_b32 s82, s82, 0xffffff                               // 000000009598: 8652FF52 00FFFFFF
	s_cmp_lt_u32 s82, s66                                      // 0000000095A0: BF0A4252
	s_cselect_b32 s21, s36, s60                                // 0000000095A4: 85153C24
	s_mov_b64 exec, s[20:21]                                   // 0000000095A8: BEFE0114
	global_atomic_add_f32 v6, v146, s[8:9] offset:8            // 0000000095AC: DD348008 00089206
	global_atomic_add_f32 v6, v150, s[8:9] offset:264          // 0000000095B4: DD348108 00089606
	s_mov_b64 exec, s[36:37]                                   // 0000000095BC: BEFE0124
	v_mov_b32_e32 v6, v61                                      // 0000000095C0: 7E0C033D
	s_mov_b64 s[60:61], 0                                      // 0000000095C4: BEBC0180
	v_readlane_b32 s82, v3, 2                                  // 0000000095C8: D2890052 00010503
	s_and_b32 s82, s82, 0xffffff                               // 0000000095D0: 8652FF52 00FFFFFF
	s_cmp_lt_u32 s82, s66                                      // 0000000095D8: BF0A4252
	s_cselect_b32 s20, s36, s60                                // 0000000095DC: 85143C24
	v_readlane_b32 s82, v3, 3                                  // 0000000095E0: D2890052 00010703
	s_and_b32 s82, s82, 0xffffff                               // 0000000095E8: 8652FF52 00FFFFFF
	s_cmp_lt_u32 s82, s66                                      // 0000000095F0: BF0A4252
	s_cselect_b32 s21, s36, s60                                // 0000000095F4: 85153C24
	s_mov_b64 exec, s[20:21]                                   // 0000000095F8: BEFE0114
	global_atomic_add_f32 v6, v147, s[8:9] offset:8            // 0000000095FC: DD348008 00089306
	global_atomic_add_f32 v6, v151, s[8:9] offset:264          // 000000009604: DD348108 00089706
	s_mov_b64 exec, s[36:37]                                   // 00000000960C: BEFE0124
	v_mov_b32_e32 v6, v62                                      // 000000009610: 7E0C033E
	s_mov_b64 s[60:61], 0                                      // 000000009614: BEBC0180
	v_readlane_b32 s82, v3, 4                                  // 000000009618: D2890052 00010903
	s_and_b32 s82, s82, 0xffffff                               // 000000009620: 8652FF52 00FFFFFF
	s_cmp_lt_u32 s82, s66                                      // 000000009628: BF0A4252
	s_cselect_b32 s20, s36, s60                                // 00000000962C: 85143C24
	v_readlane_b32 s82, v3, 5                                  // 000000009630: D2890052 00010B03
	s_and_b32 s82, s82, 0xffffff                               // 000000009638: 8652FF52 00FFFFFF
	s_cmp_lt_u32 s82, s66                                      // 000000009640: BF0A4252
	s_cselect_b32 s21, s36, s60                                // 000000009644: 85153C24
	s_mov_b64 exec, s[20:21]                                   // 000000009648: BEFE0114
	global_atomic_add_f32 v6, v154, s[8:9] offset:8            // 00000000964C: DD348008 00089A06
	global_atomic_add_f32 v6, v158, s[8:9] offset:264          // 000000009654: DD348108 00089E06
	s_mov_b64 exec, s[36:37]                                   // 00000000965C: BEFE0124
	v_mov_b32_e32 v6, v63                                      // 000000009660: 7E0C033F
	s_mov_b64 s[60:61], 0                                      // 000000009664: BEBC0180
	v_readlane_b32 s82, v3, 6                                  // 000000009668: D2890052 00010D03
	s_and_b32 s82, s82, 0xffffff                               // 000000009670: 8652FF52 00FFFFFF
	s_cmp_lt_u32 s82, s66                                      // 000000009678: BF0A4252
	s_cselect_b32 s20, s36, s60                                // 00000000967C: 85143C24
	v_readlane_b32 s82, v3, 7                                  // 000000009680: D2890052 00010F03
	s_and_b32 s82, s82, 0xffffff                               // 000000009688: 8652FF52 00FFFFFF
	s_cmp_lt_u32 s82, s66                                      // 000000009690: BF0A4252
	s_cselect_b32 s21, s36, s60                                // 000000009694: 85153C24
	s_mov_b64 exec, s[20:21]                                   // 000000009698: BEFE0114
	global_atomic_add_f32 v6, v155, s[8:9] offset:8            // 00000000969C: DD348008 00089B06
	global_atomic_add_f32 v6, v159, s[8:9] offset:264          // 0000000096A4: DD348108 00089F06
	s_mov_b64 exec, s[36:37]                                   // 0000000096AC: BEFE0124
	v_mov_b32_e32 v6, v64                                      // 0000000096B0: 7E0C0340
	s_mov_b64 s[60:61], 0                                      // 0000000096B4: BEBC0180
	v_readlane_b32 s82, v3, 8                                  // 0000000096B8: D2890052 00011103
	s_and_b32 s82, s82, 0xffffff                               // 0000000096C0: 8652FF52 00FFFFFF
	s_cmp_lt_u32 s82, s66                                      // 0000000096C8: BF0A4252
	s_cselect_b32 s20, s36, s60                                // 0000000096CC: 85143C24
	v_readlane_b32 s82, v3, 9                                  // 0000000096D0: D2890052 00011303
	s_and_b32 s82, s82, 0xffffff                               // 0000000096D8: 8652FF52 00FFFFFF
	s_cmp_lt_u32 s82, s66                                      // 0000000096E0: BF0A4252
	s_cselect_b32 s21, s36, s60                                // 0000000096E4: 85153C24
	s_mov_b64 exec, s[20:21]                                   // 0000000096E8: BEFE0114
	global_atomic_add_f32 v6, v162, s[8:9] offset:8            // 0000000096EC: DD348008 0008A206
	global_atomic_add_f32 v6, v166, s[8:9] offset:264          // 0000000096F4: DD348108 0008A606
	s_mov_b64 exec, s[36:37]                                   // 0000000096FC: BEFE0124
	v_mov_b32_e32 v6, v65                                      // 000000009700: 7E0C0341
	s_mov_b64 s[60:61], 0                                      // 000000009704: BEBC0180
	v_readlane_b32 s82, v3, 10                                 // 000000009708: D2890052 00011503
	s_and_b32 s82, s82, 0xffffff                               // 000000009710: 8652FF52 00FFFFFF
	s_cmp_lt_u32 s82, s66                                      // 000000009718: BF0A4252
	s_cselect_b32 s20, s36, s60                                // 00000000971C: 85143C24
	v_readlane_b32 s82, v3, 11                                 // 000000009720: D2890052 00011703
	s_and_b32 s82, s82, 0xffffff                               // 000000009728: 8652FF52 00FFFFFF
	s_cmp_lt_u32 s82, s66                                      // 000000009730: BF0A4252
	s_cselect_b32 s21, s36, s60                                // 000000009734: 85153C24
	s_mov_b64 exec, s[20:21]                                   // 000000009738: BEFE0114
	global_atomic_add_f32 v6, v163, s[8:9] offset:8            // 00000000973C: DD348008 0008A306
	global_atomic_add_f32 v6, v167, s[8:9] offset:264          // 000000009744: DD348108 0008A706
	s_mov_b64 exec, s[36:37]                                   // 00000000974C: BEFE0124
	v_mov_b32_e32 v6, v66                                      // 000000009750: 7E0C0342
	s_mov_b64 s[60:61], 0                                      // 000000009754: BEBC0180
	v_readlane_b32 s82, v3, 12                                 // 000000009758: D2890052 00011903
	s_and_b32 s82, s82, 0xffffff                               // 000000009760: 8652FF52 00FFFFFF
	s_cmp_lt_u32 s82, s66                                      // 000000009768: BF0A4252
	s_cselect_b32 s20, s36, s60                                // 00000000976C: 85143C24
	v_readlane_b32 s82, v3, 13                                 // 000000009770: D2890052 00011B03
	s_and_b32 s82, s82, 0xffffff                               // 000000009778: 8652FF52 00FFFFFF
	s_cmp_lt_u32 s82, s66                                      // 000000009780: BF0A4252
	s_cselect_b32 s21, s36, s60                                // 000000009784: 85153C24
	s_mov_b64 exec, s[20:21]                                   // 000000009788: BEFE0114
	global_atomic_add_f32 v6, v170, s[8:9] offset:8            // 00000000978C: DD348008 0008AA06
	global_atomic_add_f32 v6, v174, s[8:9] offset:264          // 000000009794: DD348108 0008AE06
	s_mov_b64 exec, s[36:37]                                   // 00000000979C: BEFE0124
	v_mov_b32_e32 v6, v67                                      // 0000000097A0: 7E0C0343
	s_mov_b64 s[60:61], 0                                      // 0000000097A4: BEBC0180
	v_readlane_b32 s82, v3, 14                                 // 0000000097A8: D2890052 00011D03
	s_and_b32 s82, s82, 0xffffff                               // 0000000097B0: 8652FF52 00FFFFFF
	s_cmp_lt_u32 s82, s66                                      // 0000000097B8: BF0A4252
	s_cselect_b32 s20, s36, s60                                // 0000000097BC: 85143C24
	v_readlane_b32 s82, v3, 15                                 // 0000000097C0: D2890052 00011F03
	s_and_b32 s82, s82, 0xffffff                               // 0000000097C8: 8652FF52 00FFFFFF
	s_cmp_lt_u32 s82, s66                                      // 0000000097D0: BF0A4252
	s_cselect_b32 s21, s36, s60                                // 0000000097D4: 85153C24
	s_mov_b64 exec, s[20:21]                                   // 0000000097D8: BEFE0114
	global_atomic_add_f32 v6, v171, s[8:9] offset:8            // 0000000097DC: DD348008 0008AB06
	global_atomic_add_f32 v6, v175, s[8:9] offset:264          // 0000000097E4: DD348108 0008AF06
	s_mov_b64 exec, s[36:37]                                   // 0000000097EC: BEFE0124
	v_mov_b32_e32 v6, v68                                      // 0000000097F0: 7E0C0344
	s_mov_b64 s[60:61], 0                                      // 0000000097F4: BEBC0180
	v_readlane_b32 s82, v3, 16                                 // 0000000097F8: D2890052 00012103
	s_and_b32 s82, s82, 0xffffff                               // 000000009800: 8652FF52 00FFFFFF
	s_cmp_lt_u32 s82, s66                                      // 000000009808: BF0A4252
	s_cselect_b32 s20, s36, s60                                // 00000000980C: 85143C24
	v_readlane_b32 s82, v3, 17                                 // 000000009810: D2890052 00012303
	s_and_b32 s82, s82, 0xffffff                               // 000000009818: 8652FF52 00FFFFFF
	s_cmp_lt_u32 s82, s66                                      // 000000009820: BF0A4252
	s_cselect_b32 s21, s36, s60                                // 000000009824: 85153C24
	s_mov_b64 exec, s[20:21]                                   // 000000009828: BEFE0114
	global_atomic_add_f32 v6, v178, s[8:9] offset:8            // 00000000982C: DD348008 0008B206
	global_atomic_add_f32 v6, v182, s[8:9] offset:264          // 000000009834: DD348108 0008B606
	s_mov_b64 exec, s[36:37]                                   // 00000000983C: BEFE0124
	v_mov_b32_e32 v6, v69                                      // 000000009840: 7E0C0345
	s_mov_b64 s[60:61], 0                                      // 000000009844: BEBC0180
	v_readlane_b32 s82, v3, 18                                 // 000000009848: D2890052 00012503
	s_and_b32 s82, s82, 0xffffff                               // 000000009850: 8652FF52 00FFFFFF
	s_cmp_lt_u32 s82, s66                                      // 000000009858: BF0A4252
	s_cselect_b32 s20, s36, s60                                // 00000000985C: 85143C24
	v_readlane_b32 s82, v3, 19                                 // 000000009860: D2890052 00012703
	s_and_b32 s82, s82, 0xffffff                               // 000000009868: 8652FF52 00FFFFFF
	s_cmp_lt_u32 s82, s66                                      // 000000009870: BF0A4252
	s_cselect_b32 s21, s36, s60                                // 000000009874: 85153C24
	s_mov_b64 exec, s[20:21]                                   // 000000009878: BEFE0114
	global_atomic_add_f32 v6, v179, s[8:9] offset:8            // 00000000987C: DD348008 0008B306
	global_atomic_add_f32 v6, v183, s[8:9] offset:264          // 000000009884: DD348108 0008B706
	s_mov_b64 exec, s[36:37]                                   // 00000000988C: BEFE0124
	v_mov_b32_e32 v6, v70                                      // 000000009890: 7E0C0346
	s_mov_b64 s[60:61], 0                                      // 000000009894: BEBC0180
	v_readlane_b32 s82, v3, 20                                 // 000000009898: D2890052 00012903
	s_and_b32 s82, s82, 0xffffff                               // 0000000098A0: 8652FF52 00FFFFFF
	s_cmp_lt_u32 s82, s66                                      // 0000000098A8: BF0A4252
	s_cselect_b32 s20, s36, s60                                // 0000000098AC: 85143C24
	v_readlane_b32 s82, v3, 21                                 // 0000000098B0: D2890052 00012B03
	s_and_b32 s82, s82, 0xffffff                               // 0000000098B8: 8652FF52 00FFFFFF
	s_cmp_lt_u32 s82, s66                                      // 0000000098C0: BF0A4252
	s_cselect_b32 s21, s36, s60                                // 0000000098C4: 85153C24
	s_mov_b64 exec, s[20:21]                                   // 0000000098C8: BEFE0114
	global_atomic_add_f32 v6, v186, s[8:9] offset:8            // 0000000098CC: DD348008 0008BA06
	global_atomic_add_f32 v6, v190, s[8:9] offset:264          // 0000000098D4: DD348108 0008BE06
	s_mov_b64 exec, s[36:37]                                   // 0000000098DC: BEFE0124
	v_mov_b32_e32 v6, v71                                      // 0000000098E0: 7E0C0347
	s_mov_b64 s[60:61], 0                                      // 0000000098E4: BEBC0180
	v_readlane_b32 s82, v3, 22                                 // 0000000098E8: D2890052 00012D03
	s_and_b32 s82, s82, 0xffffff                               // 0000000098F0: 8652FF52 00FFFFFF
	s_cmp_lt_u32 s82, s66                                      // 0000000098F8: BF0A4252
	s_cselect_b32 s20, s36, s60                                // 0000000098FC: 85143C24
	v_readlane_b32 s82, v3, 23                                 // 000000009900: D2890052 00012F03
	s_and_b32 s82, s82, 0xffffff                               // 000000009908: 8652FF52 00FFFFFF
	s_cmp_lt_u32 s82, s66                                      // 000000009910: BF0A4252
	s_cselect_b32 s21, s36, s60                                // 000000009914: 85153C24
	s_mov_b64 exec, s[20:21]                                   // 000000009918: BEFE0114
	global_atomic_add_f32 v6, v187, s[8:9] offset:8            // 00000000991C: DD348008 0008BB06
	global_atomic_add_f32 v6, v191, s[8:9] offset:264          // 000000009924: DD348108 0008BF06
	s_mov_b64 exec, s[36:37]                                   // 00000000992C: BEFE0124
	v_mov_b32_e32 v6, v72                                      // 000000009930: 7E0C0348
	s_mov_b64 s[60:61], 0                                      // 000000009934: BEBC0180
	v_readlane_b32 s82, v3, 24                                 // 000000009938: D2890052 00013103
	s_and_b32 s82, s82, 0xffffff                               // 000000009940: 8652FF52 00FFFFFF
	s_cmp_lt_u32 s82, s66                                      // 000000009948: BF0A4252
	s_cselect_b32 s20, s36, s60                                // 00000000994C: 85143C24
	v_readlane_b32 s82, v3, 25                                 // 000000009950: D2890052 00013303
	s_and_b32 s82, s82, 0xffffff                               // 000000009958: 8652FF52 00FFFFFF
	s_cmp_lt_u32 s82, s66                                      // 000000009960: BF0A4252
	s_cselect_b32 s21, s36, s60                                // 000000009964: 85153C24
	s_mov_b64 exec, s[20:21]                                   // 000000009968: BEFE0114
	global_atomic_add_f32 v6, v194, s[8:9] offset:8            // 00000000996C: DD348008 0008C206
	global_atomic_add_f32 v6, v198, s[8:9] offset:264          // 000000009974: DD348108 0008C606
	s_mov_b64 exec, s[36:37]                                   // 00000000997C: BEFE0124
	v_mov_b32_e32 v6, v73                                      // 000000009980: 7E0C0349
	s_mov_b64 s[60:61], 0                                      // 000000009984: BEBC0180
	v_readlane_b32 s82, v3, 26                                 // 000000009988: D2890052 00013503
	s_and_b32 s82, s82, 0xffffff                               // 000000009990: 8652FF52 00FFFFFF
	s_cmp_lt_u32 s82, s66                                      // 000000009998: BF0A4252
	s_cselect_b32 s20, s36, s60                                // 00000000999C: 85143C24
	v_readlane_b32 s82, v3, 27                                 // 0000000099A0: D2890052 00013703
	s_and_b32 s82, s82, 0xffffff                               // 0000000099A8: 8652FF52 00FFFFFF
	s_cmp_lt_u32 s82, s66                                      // 0000000099B0: BF0A4252
	s_cselect_b32 s21, s36, s60                                // 0000000099B4: 85153C24
	s_mov_b64 exec, s[20:21]                                   // 0000000099B8: BEFE0114
	global_atomic_add_f32 v6, v195, s[8:9] offset:8            // 0000000099BC: DD348008 0008C306
	global_atomic_add_f32 v6, v199, s[8:9] offset:264          // 0000000099C4: DD348108 0008C706
	s_mov_b64 exec, s[36:37]                                   // 0000000099CC: BEFE0124
	v_mov_b32_e32 v6, v74                                      // 0000000099D0: 7E0C034A
	s_mov_b64 s[60:61], 0                                      // 0000000099D4: BEBC0180
	v_readlane_b32 s82, v3, 28                                 // 0000000099D8: D2890052 00013903
	s_and_b32 s82, s82, 0xffffff                               // 0000000099E0: 8652FF52 00FFFFFF
	s_cmp_lt_u32 s82, s66                                      // 0000000099E8: BF0A4252
	s_cselect_b32 s20, s36, s60                                // 0000000099EC: 85143C24
	v_readlane_b32 s82, v3, 29                                 // 0000000099F0: D2890052 00013B03
	s_and_b32 s82, s82, 0xffffff                               // 0000000099F8: 8652FF52 00FFFFFF
	s_cmp_lt_u32 s82, s66                                      // 000000009A00: BF0A4252
	s_cselect_b32 s21, s36, s60                                // 000000009A04: 85153C24
	s_mov_b64 exec, s[20:21]                                   // 000000009A08: BEFE0114
	global_atomic_add_f32 v6, v202, s[8:9] offset:8            // 000000009A0C: DD348008 0008CA06
	global_atomic_add_f32 v6, v206, s[8:9] offset:264          // 000000009A14: DD348108 0008CE06
	s_mov_b64 exec, s[36:37]                                   // 000000009A1C: BEFE0124
	v_mov_b32_e32 v6, v75                                      // 000000009A20: 7E0C034B
	s_mov_b64 s[60:61], 0                                      // 000000009A24: BEBC0180
	v_readlane_b32 s82, v3, 30                                 // 000000009A28: D2890052 00013D03
	s_and_b32 s82, s82, 0xffffff                               // 000000009A30: 8652FF52 00FFFFFF
	s_cmp_lt_u32 s82, s66                                      // 000000009A38: BF0A4252
	s_cselect_b32 s20, s36, s60                                // 000000009A3C: 85143C24
	v_readlane_b32 s82, v3, 31                                 // 000000009A40: D2890052 00013F03
	s_and_b32 s82, s82, 0xffffff                               // 000000009A48: 8652FF52 00FFFFFF
	s_cmp_lt_u32 s82, s66                                      // 000000009A50: BF0A4252
	s_cselect_b32 s21, s36, s60                                // 000000009A54: 85153C24
	s_mov_b64 exec, s[20:21]                                   // 000000009A58: BEFE0114
	global_atomic_add_f32 v6, v203, s[8:9] offset:8            // 000000009A5C: DD348008 0008CB06
	global_atomic_add_f32 v6, v207, s[8:9] offset:264          // 000000009A64: DD348108 0008CF06
	s_mov_b64 exec, s[36:37]                                   // 000000009A6C: BEFE0124
	s_branch label_3494                                        // 000000009A70: BF821874

0000000000009a74 <label_1C20>:
	s_waitcnt vmcnt(2) lgkmcnt(0)                              // 000000009A74: BF8C0072
	s_barrier                                                  // 000000009A78: BF8A0000
	v_mov_b32_e32 v52, v36                                     // 000000009A7C: 7E680324
	v_mov_b32_e32 v53, v37                                     // 000000009A80: 7E6A0325
	v_mov_b32_e32 v54, v38                                     // 000000009A84: 7E6C0326
	v_mov_b32_e32 v55, v39                                     // 000000009A88: 7E6E0327
	v_mov_b32_e32 v56, v40                                     // 000000009A8C: 7E700328
	v_mov_b32_e32 v57, v41                                     // 000000009A90: 7E720329
	v_mov_b32_e32 v58, v42                                     // 000000009A94: 7E74032A
	v_mov_b32_e32 v59, v43                                     // 000000009A98: 7E76032B
	v_mul_f32_dpp v4, v24, v52 row_newbcast:0 row_mask:0xf bank_mask:0xf// 000000009A9C: 0A0868FA FF015018
	v_mfma_f32_16x16x32_fp8_fp8 v[8:11], a[128:129], a[0:1], 0 // 000000009AA4: D3F30008 1A020180
	buffer_load_dword v27, v23, s[32:35], 0 offen              // 000000009AAC: E0501000 80081B17
	buffer_load_dwordx4 a[144:147], v76, s[84:87], 0 offen     // 000000009AB4: E05C1000 8095904C
	v_mfma_f32_16x16x32_fp8_fp8 v[8:11], a[130:131], a[2:3], v[8:11]// 000000009ABC: D3F30008 1C220582
	v_mfma_f32_16x16x32_fp8_fp8 v[8:11], a[132:133], a[4:5], v[8:11]// 000000009AC4: D3F30008 1C220984
	v_mfma_f32_16x16x32_fp8_fp8 v[8:11], a[134:135], a[6:7], v[8:11]// 000000009ACC: D3F30008 1C220D86
	v_mul_f32_dpp v6, v24, v53 row_newbcast:0 row_mask:0xf bank_mask:0xf// 000000009AD4: 0A0C6AFA FF015018
	v_mfma_f32_16x16x32_fp8_fp8 v[12:15], a[128:129], a[8:9], 0// 000000009ADC: D3F3000C 1A021180
	buffer_load_dwordx4 a[148:151], v76, s[84:87], 0 offen offset:1024// 000000009AE4: E05C1400 8095944C
	v_mfma_f32_16x16x32_fp8_fp8 v[12:15], a[130:131], a[10:11], v[12:15]// 000000009AEC: D3F3000C 1C321582
	v_mfma_f32_16x16x32_fp8_fp8 v[12:15], a[132:133], a[12:13], v[12:15]// 000000009AF4: D3F3000C 1C321984
	v_mfma_f32_16x16x32_fp8_fp8 v[12:15], a[134:135], a[14:15], v[12:15]// 000000009AFC: D3F3000C 1C321D86
	v_fma_f32 v80, v8, v4, v80                                 // 000000009B04: D1CB0050 05420908
	v_fma_f32 v81, v9, v4, v81                                 // 000000009B0C: D1CB0051 05460909
	v_fma_f32 v82, v10, v4, v82                                // 000000009B14: D1CB0052 054A090A
	v_fma_f32 v83, v11, v4, v83                                // 000000009B1C: D1CB0053 054E090B
	v_mul_f32_dpp v4, v24, v54 row_newbcast:0 row_mask:0xf bank_mask:0xf// 000000009B24: 0A086CFA FF015018
	v_mfma_f32_16x16x32_fp8_fp8 v[8:11], a[128:129], a[16:17], 0// 000000009B2C: D3F30008 1A022180
	buffer_load_dwordx4 a[152:155], v77, s[84:87], 0 offen     // 000000009B34: E05C1000 8095984D
	v_mfma_f32_16x16x32_fp8_fp8 v[8:11], a[130:131], a[18:19], v[8:11]// 000000009B3C: D3F30008 1C222582
	v_mfma_f32_16x16x32_fp8_fp8 v[8:11], a[132:133], a[20:21], v[8:11]// 000000009B44: D3F30008 1C222984
	v_mfma_f32_16x16x32_fp8_fp8 v[8:11], a[134:135], a[22:23], v[8:11]// 000000009B4C: D3F30008 1C222D86
	v_fma_f32 v84, v12, v6, v84                                // 000000009B54: D1CB0054 05520D0C
	v_fma_f32 v85, v13, v6, v85                                // 000000009B5C: D1CB0055 05560D0D
	v_fma_f32 v86, v14, v6, v86                                // 000000009B64: D1CB0056 055A0D0E
	v_fma_f32 v87, v15, v6, v87                                // 000000009B6C: D1CB0057 055E0D0F
	v_mul_f32_dpp v6, v24, v55 row_newbcast:0 row_mask:0xf bank_mask:0xf// 000000009B74: 0A0C6EFA FF015018
	v_mfma_f32_16x16x32_fp8_fp8 v[12:15], a[128:129], a[24:25], 0// 000000009B7C: D3F3000C 1A023180
	buffer_load_dwordx4 a[156:159], v77, s[84:87], 0 offen offset:1024// 000000009B84: E05C1400 80959C4D
	buffer_load_dword v60, s[20:23], 0 offen lds               // 000000009B8C: E0511000 8005003C
	s_add_u32 m0, 0x100, s48                                   // 000000009B94: 807C30FF 00000100
	v_mfma_f32_16x16x32_fp8_fp8 v[12:15], a[130:131], a[26:27], v[12:15]// 000000009B9C: D3F3000C 1C323582
	v_mfma_f32_16x16x32_fp8_fp8 v[12:15], a[132:133], a[28:29], v[12:15]// 000000009BA4: D3F3000C 1C323984
	buffer_load_dword v61, s[20:23], 0 offen lds               // 000000009BAC: E0511000 8005003D
	s_add_u32 m0, 0x200, s48                                   // 000000009BB4: 807C30FF 00000200
	v_mfma_f32_16x16x32_fp8_fp8 v[12:15], a[134:135], a[30:31], v[12:15]// 000000009BBC: D3F3000C 1C323D86
	v_fma_f32 v88, v8, v4, v88                                 // 000000009BC4: D1CB0058 05620908
	v_fma_f32 v89, v9, v4, v89                                 // 000000009BCC: D1CB0059 05660909
	v_fma_f32 v90, v10, v4, v90                                // 000000009BD4: D1CB005A 056A090A
	v_fma_f32 v91, v11, v4, v91                                // 000000009BDC: D1CB005B 056E090B
	v_mul_f32_dpp v4, v24, v56 row_newbcast:0 row_mask:0xf bank_mask:0xf// 000000009BE4: 0A0870FA FF015018
	v_mfma_f32_16x16x32_fp8_fp8 v[8:11], a[128:129], a[32:33], 0// 000000009BEC: D3F30008 1A024180
	buffer_load_dword v62, s[20:23], 0 offen lds               // 000000009BF4: E0511000 8005003E
	s_add_u32 m0, 0x300, s48                                   // 000000009BFC: 807C30FF 00000300
	v_mfma_f32_16x16x32_fp8_fp8 v[8:11], a[130:131], a[34:35], v[8:11]// 000000009C04: D3F30008 1C224582
	v_mfma_f32_16x16x32_fp8_fp8 v[8:11], a[132:133], a[36:37], v[8:11]// 000000009C0C: D3F30008 1C224984
	buffer_load_dword v63, s[20:23], 0 offen lds               // 000000009C14: E0511000 8005003F
	s_add_u32 m0, 0x400, s48                                   // 000000009C1C: 807C30FF 00000400
	v_mfma_f32_16x16x32_fp8_fp8 v[8:11], a[134:135], a[38:39], v[8:11]// 000000009C24: D3F30008 1C224D86
	v_fma_f32 v92, v12, v6, v92                                // 000000009C2C: D1CB005C 05720D0C
	v_fma_f32 v93, v13, v6, v93                                // 000000009C34: D1CB005D 05760D0D
	v_fma_f32 v94, v14, v6, v94                                // 000000009C3C: D1CB005E 057A0D0E
	v_fma_f32 v95, v15, v6, v95                                // 000000009C44: D1CB005F 057E0D0F
	v_mul_f32_dpp v6, v24, v57 row_newbcast:0 row_mask:0xf bank_mask:0xf// 000000009C4C: 0A0C72FA FF015018
	v_mfma_f32_16x16x32_fp8_fp8 v[12:15], a[128:129], a[40:41], 0// 000000009C54: D3F3000C 1A025180
	buffer_load_dword v64, s[20:23], 0 offen lds               // 000000009C5C: E0511000 80050040
	s_add_u32 m0, 0x500, s48                                   // 000000009C64: 807C30FF 00000500
	v_mfma_f32_16x16x32_fp8_fp8 v[12:15], a[130:131], a[42:43], v[12:15]// 000000009C6C: D3F3000C 1C325582
	v_mfma_f32_16x16x32_fp8_fp8 v[12:15], a[132:133], a[44:45], v[12:15]// 000000009C74: D3F3000C 1C325984
	buffer_load_dword v65, s[20:23], 0 offen lds               // 000000009C7C: E0511000 80050041
	s_add_u32 m0, 0x600, s48                                   // 000000009C84: 807C30FF 00000600
	v_mfma_f32_16x16x32_fp8_fp8 v[12:15], a[134:135], a[46:47], v[12:15]// 000000009C8C: D3F3000C 1C325D86
	v_fma_f32 v96, v8, v4, v96                                 // 000000009C94: D1CB0060 05820908
	v_fma_f32 v97, v9, v4, v97                                 // 000000009C9C: D1CB0061 05860909
	v_fma_f32 v98, v10, v4, v98                                // 000000009CA4: D1CB0062 058A090A
	v_fma_f32 v99, v11, v4, v99                                // 000000009CAC: D1CB0063 058E090B
	v_mul_f32_dpp v4, v24, v58 row_newbcast:0 row_mask:0xf bank_mask:0xf// 000000009CB4: 0A0874FA FF015018
	v_mfma_f32_16x16x32_fp8_fp8 v[8:11], a[128:129], a[48:49], 0// 000000009CBC: D3F30008 1A026180
	buffer_load_dword v66, s[20:23], 0 offen lds               // 000000009CC4: E0511000 80050042
	s_add_u32 m0, 0x700, s48                                   // 000000009CCC: 807C30FF 00000700
	v_mfma_f32_16x16x32_fp8_fp8 v[8:11], a[130:131], a[50:51], v[8:11]// 000000009CD4: D3F30008 1C226582
	v_mfma_f32_16x16x32_fp8_fp8 v[8:11], a[132:133], a[52:53], v[8:11]// 000000009CDC: D3F30008 1C226984
	buffer_load_dword v67, s[20:23], 0 offen lds               // 000000009CE4: E0511000 80050043
	s_add_u32 m0, 0x800, s48                                   // 000000009CEC: 807C30FF 00000800
	v_mfma_f32_16x16x32_fp8_fp8 v[8:11], a[134:135], a[54:55], v[8:11]// 000000009CF4: D3F30008 1C226D86
	v_fma_f32 v100, v12, v6, v100                              // 000000009CFC: D1CB0064 05920D0C
	v_fma_f32 v101, v13, v6, v101                              // 000000009D04: D1CB0065 05960D0D
	v_fma_f32 v102, v14, v6, v102                              // 000000009D0C: D1CB0066 059A0D0E
	v_fma_f32 v103, v15, v6, v103                              // 000000009D14: D1CB0067 059E0D0F
	v_mul_f32_dpp v6, v24, v59 row_newbcast:0 row_mask:0xf bank_mask:0xf// 000000009D1C: 0A0C76FA FF015018
	v_mfma_f32_16x16x32_fp8_fp8 v[12:15], a[128:129], a[56:57], 0// 000000009D24: D3F3000C 1A027180
	buffer_load_dword v68, s[20:23], 0 offen lds               // 000000009D2C: E0511000 80050044
	s_add_u32 m0, 0x900, s48                                   // 000000009D34: 807C30FF 00000900
	v_mfma_f32_16x16x32_fp8_fp8 v[12:15], a[130:131], a[58:59], v[12:15]// 000000009D3C: D3F3000C 1C327582
	v_mfma_f32_16x16x32_fp8_fp8 v[12:15], a[132:133], a[60:61], v[12:15]// 000000009D44: D3F3000C 1C327984
	buffer_load_dword v69, s[20:23], 0 offen lds               // 000000009D4C: E0511000 80050045
	s_add_u32 m0, 0xa00, s48                                   // 000000009D54: 807C30FF 00000A00
	v_mfma_f32_16x16x32_fp8_fp8 v[12:15], a[134:135], a[62:63], v[12:15]// 000000009D5C: D3F3000C 1C327D86
	v_fma_f32 v104, v8, v4, v104                               // 000000009D64: D1CB0068 05A20908
	v_fma_f32 v105, v9, v4, v105                               // 000000009D6C: D1CB0069 05A60909
	v_fma_f32 v106, v10, v4, v106                              // 000000009D74: D1CB006A 05AA090A
	v_fma_f32 v107, v11, v4, v107                              // 000000009D7C: D1CB006B 05AE090B
	s_waitcnt vmcnt(15)                                        // 000000009D84: BF8C0F7F
	v_mul_f32_dpp v4, v24, v52 row_newbcast:0 row_mask:0xf bank_mask:0xf// 000000009D88: 0A0868FA FF015018
	v_mfma_f32_16x16x32_fp8_fp8 v[8:11], a[136:137], a[0:1], 0 // 000000009D90: D3F30008 1A020188
	buffer_load_dword v70, s[20:23], 0 offen lds               // 000000009D98: E0511000 80050046
	s_add_u32 m0, 0xb00, s48                                   // 000000009DA0: 807C30FF 00000B00
	v_mfma_f32_16x16x32_fp8_fp8 v[8:11], a[138:139], a[2:3], v[8:11]// 000000009DA8: D3F30008 1C22058A
	v_mfma_f32_16x16x32_fp8_fp8 v[8:11], a[140:141], a[4:5], v[8:11]// 000000009DB0: D3F30008 1C22098C
	buffer_load_dword v71, s[20:23], 0 offen lds               // 000000009DB8: E0511000 80050047
	s_add_u32 m0, 0xc00, s48                                   // 000000009DC0: 807C30FF 00000C00
	v_mfma_f32_16x16x32_fp8_fp8 v[8:11], a[142:143], a[6:7], v[8:11]// 000000009DC8: D3F30008 1C220D8E
	v_fma_f32 v108, v12, v6, v108                              // 000000009DD0: D1CB006C 05B20D0C
	v_fma_f32 v109, v13, v6, v109                              // 000000009DD8: D1CB006D 05B60D0D
	v_fma_f32 v110, v14, v6, v110                              // 000000009DE0: D1CB006E 05BA0D0E
	v_fma_f32 v111, v15, v6, v111                              // 000000009DE8: D1CB006F 05BE0D0F
	v_mul_f32_dpp v6, v24, v53 row_newbcast:0 row_mask:0xf bank_mask:0xf// 000000009DF0: 0A0C6AFA FF015018
	v_mfma_f32_16x16x32_fp8_fp8 v[12:15], a[136:137], a[8:9], 0// 000000009DF8: D3F3000C 1A021188
	buffer_load_dword v72, s[20:23], 0 offen lds               // 000000009E00: E0511000 80050048
	s_add_u32 m0, 0xd00, s48                                   // 000000009E08: 807C30FF 00000D00
	v_mfma_f32_16x16x32_fp8_fp8 v[12:15], a[138:139], a[10:11], v[12:15]// 000000009E10: D3F3000C 1C32158A
	v_mfma_f32_16x16x32_fp8_fp8 v[12:15], a[140:141], a[12:13], v[12:15]// 000000009E18: D3F3000C 1C32198C
	buffer_load_dword v73, s[20:23], 0 offen lds               // 000000009E20: E0511000 80050049
	s_add_u32 m0, 0xe00, s48                                   // 000000009E28: 807C30FF 00000E00
	v_mfma_f32_16x16x32_fp8_fp8 v[12:15], a[142:143], a[14:15], v[12:15]// 000000009E30: D3F3000C 1C321D8E
	v_fma_f32 v112, v8, v4, v112                               // 000000009E38: D1CB0070 05C20908
	v_fma_f32 v113, v9, v4, v113                               // 000000009E40: D1CB0071 05C60909
	v_fma_f32 v114, v10, v4, v114                              // 000000009E48: D1CB0072 05CA090A
	v_fma_f32 v115, v11, v4, v115                              // 000000009E50: D1CB0073 05CE090B
	v_mul_f32_dpp v4, v24, v54 row_newbcast:0 row_mask:0xf bank_mask:0xf// 000000009E58: 0A086CFA FF015018
	v_mfma_f32_16x16x32_fp8_fp8 v[8:11], a[136:137], a[16:17], 0// 000000009E60: D3F30008 1A022188
	buffer_load_dword v74, s[20:23], 0 offen lds               // 000000009E68: E0511000 8005004A
	s_add_u32 m0, 0xf00, s48                                   // 000000009E70: 807C30FF 00000F00
	v_mfma_f32_16x16x32_fp8_fp8 v[8:11], a[138:139], a[18:19], v[8:11]// 000000009E78: D3F30008 1C22258A
	v_mfma_f32_16x16x32_fp8_fp8 v[8:11], a[140:141], a[20:21], v[8:11]// 000000009E80: D3F30008 1C22298C
	buffer_load_dword v75, s[20:23], 0 offen lds               // 000000009E88: E0511000 8005004B
	s_add_u32 m0, 0, s49                                       // 000000009E90: 807C3180
	v_mfma_f32_16x16x32_fp8_fp8 v[8:11], a[142:143], a[22:23], v[8:11]// 000000009E94: D3F30008 1C222D8E
	v_fma_f32 v116, v12, v6, v116                              // 000000009E9C: D1CB0074 05D20D0C
	v_fma_f32 v117, v13, v6, v117                              // 000000009EA4: D1CB0075 05D60D0D
	v_fma_f32 v118, v14, v6, v118                              // 000000009EAC: D1CB0076 05DA0D0E
	v_fma_f32 v119, v15, v6, v119                              // 000000009EB4: D1CB0077 05DE0D0F
	v_mul_f32_dpp v6, v24, v55 row_newbcast:0 row_mask:0xf bank_mask:0xf// 000000009EBC: 0A0C6EFA FF015018
	v_mfma_f32_16x16x32_fp8_fp8 v[12:15], a[136:137], a[24:25], 0// 000000009EC4: D3F3000C 1A023188
	buffer_load_dword v36, v28, s[28:31], 0 offen              // 000000009ECC: E0501000 8007241C
	v_mfma_f32_16x16x32_fp8_fp8 v[12:15], a[138:139], a[26:27], v[12:15]// 000000009ED4: D3F3000C 1C32358A
	v_mfma_f32_16x16x32_fp8_fp8 v[12:15], a[140:141], a[28:29], v[12:15]// 000000009EDC: D3F3000C 1C32398C
	buffer_load_dword v37, v29, s[28:31], 0 offen              // 000000009EE4: E0501000 8007251D
	v_mfma_f32_16x16x32_fp8_fp8 v[12:15], a[142:143], a[30:31], v[12:15]// 000000009EEC: D3F3000C 1C323D8E
	v_fma_f32 v120, v8, v4, v120                               // 000000009EF4: D1CB0078 05E20908
	v_fma_f32 v121, v9, v4, v121                               // 000000009EFC: D1CB0079 05E60909
	v_fma_f32 v122, v10, v4, v122                              // 000000009F04: D1CB007A 05EA090A
	v_fma_f32 v123, v11, v4, v123                              // 000000009F0C: D1CB007B 05EE090B
	v_mul_f32_dpp v4, v24, v56 row_newbcast:0 row_mask:0xf bank_mask:0xf// 000000009F14: 0A0870FA FF015018
	v_mfma_f32_16x16x32_fp8_fp8 v[8:11], a[136:137], a[32:33], 0// 000000009F1C: D3F30008 1A024188
	buffer_load_dword v38, v30, s[28:31], 0 offen              // 000000009F24: E0501000 8007261E
	v_mfma_f32_16x16x32_fp8_fp8 v[8:11], a[138:139], a[34:35], v[8:11]// 000000009F2C: D3F30008 1C22458A
	v_mfma_f32_16x16x32_fp8_fp8 v[8:11], a[140:141], a[36:37], v[8:11]// 000000009F34: D3F30008 1C22498C
	buffer_load_dword v39, v31, s[28:31], 0 offen              // 000000009F3C: E0501000 8007271F
	v_mfma_f32_16x16x32_fp8_fp8 v[8:11], a[142:143], a[38:39], v[8:11]// 000000009F44: D3F30008 1C224D8E
	v_fma_f32 v124, v12, v6, v124                              // 000000009F4C: D1CB007C 05F20D0C
	v_fma_f32 v125, v13, v6, v125                              // 000000009F54: D1CB007D 05F60D0D
	v_fma_f32 v126, v14, v6, v126                              // 000000009F5C: D1CB007E 05FA0D0E
	v_fma_f32 v127, v15, v6, v127                              // 000000009F64: D1CB007F 05FE0D0F
	v_mul_f32_dpp v6, v24, v57 row_newbcast:0 row_mask:0xf bank_mask:0xf// 000000009F6C: 0A0C72FA FF015018
	v_mfma_f32_16x16x32_fp8_fp8 v[12:15], a[136:137], a[40:41], 0// 000000009F74: D3F3000C 1A025188
	buffer_load_dword v40, v32, s[28:31], 0 offen              // 000000009F7C: E0501000 80072820
	v_mfma_f32_16x16x32_fp8_fp8 v[12:15], a[138:139], a[42:43], v[12:15]// 000000009F84: D3F3000C 1C32558A
	v_mfma_f32_16x16x32_fp8_fp8 v[12:15], a[140:141], a[44:45], v[12:15]// 000000009F8C: D3F3000C 1C32598C
	buffer_load_dword v41, v33, s[28:31], 0 offen              // 000000009F94: E0501000 80072921
	v_mfma_f32_16x16x32_fp8_fp8 v[12:15], a[142:143], a[46:47], v[12:15]// 000000009F9C: D3F3000C 1C325D8E
	v_fma_f32 v128, v8, v4, v128                               // 000000009FA4: D1CB0080 06020908
	v_fma_f32 v129, v9, v4, v129                               // 000000009FAC: D1CB0081 06060909
	v_fma_f32 v130, v10, v4, v130                              // 000000009FB4: D1CB0082 060A090A
	v_fma_f32 v131, v11, v4, v131                              // 000000009FBC: D1CB0083 060E090B
	v_mul_f32_dpp v4, v24, v58 row_newbcast:0 row_mask:0xf bank_mask:0xf// 000000009FC4: 0A0874FA FF015018
	v_mfma_f32_16x16x32_fp8_fp8 v[8:11], a[136:137], a[48:49], 0// 000000009FCC: D3F30008 1A026188
	buffer_load_dword v42, v34, s[28:31], 0 offen              // 000000009FD4: E0501000 80072A22
	v_mfma_f32_16x16x32_fp8_fp8 v[8:11], a[138:139], a[50:51], v[8:11]// 000000009FDC: D3F30008 1C22658A
	v_mfma_f32_16x16x32_fp8_fp8 v[8:11], a[140:141], a[52:53], v[8:11]// 000000009FE4: D3F30008 1C22698C
	buffer_load_dword v43, v35, s[28:31], 0 offen              // 000000009FEC: E0501000 80072B23
	v_mfma_f32_16x16x32_fp8_fp8 v[8:11], a[142:143], a[54:55], v[8:11]// 000000009FF4: D3F30008 1C226D8E
	v_fma_f32 v132, v12, v6, v132                              // 000000009FFC: D1CB0084 06120D0C
	v_fma_f32 v133, v13, v6, v133                              // 00000000A004: D1CB0085 06160D0D
	v_fma_f32 v134, v14, v6, v134                              // 00000000A00C: D1CB0086 061A0D0E
	v_fma_f32 v135, v15, v6, v135                              // 00000000A014: D1CB0087 061E0D0F
	v_mul_f32_dpp v6, v24, v59 row_newbcast:0 row_mask:0xf bank_mask:0xf// 00000000A01C: 0A0C76FA FF015018
	v_mfma_f32_16x16x32_fp8_fp8 v[12:15], a[136:137], a[56:57], 0// 00000000A024: D3F3000C 1A027188
	v_mfma_f32_16x16x32_fp8_fp8 v[12:15], a[138:139], a[58:59], v[12:15]// 00000000A02C: D3F3000C 1C32758A
	s_add_u32 s60, 0x80, s80                                   // 00000000A034: 803C50FF 00000080
	s_cmp_lt_u32 s60, s81                                      // 00000000A03C: BF0A513C
	s_cselect_b32 s83, s83, 0                                  // 00000000A040: 85538053
	s_cselect_b32 s4, s4, 0                                    // 00000000A044: 85048004
	v_mfma_f32_16x16x32_fp8_fp8 v[12:15], a[140:141], a[60:61], v[12:15]// 00000000A048: D3F3000C 1C32798C
	s_add_u32 s32, s4, s32                                     // 00000000A050: 80202004
	s_addc_u32 s33, 0, s33                                     // 00000000A054: 82212180
	v_mfma_f32_16x16x32_fp8_fp8 v[12:15], a[142:143], a[62:63], v[12:15]// 00000000A058: D3F3000C 1C327D8E
	v_fma_f32 v136, v8, v4, v136                               // 00000000A060: D1CB0088 06220908
	v_fma_f32 v137, v9, v4, v137                               // 00000000A068: D1CB0089 06260909
	v_fma_f32 v138, v10, v4, v138                              // 00000000A070: D1CB008A 062A090A
	v_fma_f32 v139, v11, v4, v139                              // 00000000A078: D1CB008B 062E090B
	v_fma_f32 v140, v12, v6, v140                              // 00000000A080: D1CB008C 06320D0C
	v_fma_f32 v141, v13, v6, v141                              // 00000000A088: D1CB008D 06360D0D
	v_fma_f32 v142, v14, v6, v142                              // 00000000A090: D1CB008E 063A0D0E
	v_fma_f32 v143, v15, v6, v143                              // 00000000A098: D1CB008F 063E0D0F
	s_waitcnt vmcnt(24)                                        // 00000000A0A0: BF8C4F78
	v_mul_f32_dpp v4, v27, v52 row_newbcast:0 row_mask:0xf bank_mask:0xf// 00000000A0A4: 0A0868FA FF01501B
	v_mfma_f32_16x16x32_fp8_fp8 v[8:11], a[144:145], a[0:1], 0 // 00000000A0AC: D3F30008 1A020190
	buffer_load_dword v24, v22, s[32:35], 0 offen              // 00000000A0B4: E0501000 80081816
	buffer_load_dwordx4 a[128:131], v76, s[24:27], 0 offen     // 00000000A0BC: E05C1000 8086804C
	v_mfma_f32_16x16x32_fp8_fp8 v[8:11], a[146:147], a[2:3], v[8:11]// 00000000A0C4: D3F30008 1C220592
	v_mfma_f32_16x16x32_fp8_fp8 v[8:11], a[148:149], a[4:5], v[8:11]// 00000000A0CC: D3F30008 1C220994
	ds_read_b128 a[64:67], v2 offset:16512                     // 00000000A0D4: DBFE4080 40000002
	ds_read_b128 a[68:71], v2 offset:16576                     // 00000000A0DC: DBFE40C0 44000002
	v_mfma_f32_16x16x32_fp8_fp8 v[8:11], a[150:151], a[6:7], v[8:11]// 00000000A0E4: D3F30008 1C220D96
	v_mfma_f32_16x16x32_fp8_fp8 v[12:15], a[152:153], a[0:1], 0// 00000000A0EC: D3F3000C 1A020198
	buffer_load_dwordx4 a[132:135], v76, s[24:27], 0 offen offset:1024// 00000000A0F4: E05C1400 8086844C
	v_mfma_f32_16x16x32_fp8_fp8 v[12:15], a[154:155], a[2:3], v[12:15]// 00000000A0FC: D3F3000C 1C32059A
	v_mfma_f32_16x16x32_fp8_fp8 v[12:15], a[156:157], a[4:5], v[12:15]// 00000000A104: D3F3000C 1C32099C
	ds_read_b128 a[72:75], v2 offset:17024                     // 00000000A10C: DBFE4280 48000002
	ds_read_b128 a[76:79], v2 offset:17088                     // 00000000A114: DBFE42C0 4C000002
	v_mfma_f32_16x16x32_fp8_fp8 v[12:15], a[158:159], a[6:7], v[12:15]// 00000000A11C: D3F3000C 1C320D9E
	v_fma_f32 v144, v8, v4, v144                               // 00000000A124: D1CB0090 06420908
	v_fma_f32 v145, v9, v4, v145                               // 00000000A12C: D1CB0091 06460909
	v_fma_f32 v146, v10, v4, v146                              // 00000000A134: D1CB0092 064A090A
	v_fma_f32 v147, v11, v4, v147                              // 00000000A13C: D1CB0093 064E090B
	v_mul_f32_dpp v6, v27, v53 row_newbcast:0 row_mask:0xf bank_mask:0xf// 00000000A144: 0A0C6AFA FF01501B
	v_mfma_f32_16x16x32_fp8_fp8 v[8:11], a[144:145], a[8:9], 0 // 00000000A14C: D3F30008 1A021190
	buffer_load_dwordx4 a[136:139], v77, s[24:27], 0 offen     // 00000000A154: E05C1000 8086884D
	v_mfma_f32_16x16x32_fp8_fp8 v[8:11], a[146:147], a[10:11], v[8:11]// 00000000A15C: D3F30008 1C221592
	v_mfma_f32_16x16x32_fp8_fp8 v[8:11], a[148:149], a[12:13], v[8:11]// 00000000A164: D3F30008 1C221994
	ds_read_b128 a[80:83], v2 offset:17536                     // 00000000A16C: DBFE4480 50000002
	ds_read_b128 a[84:87], v2 offset:17600                     // 00000000A174: DBFE44C0 54000002
	v_mfma_f32_16x16x32_fp8_fp8 v[8:11], a[150:151], a[14:15], v[8:11]// 00000000A17C: D3F30008 1C221D96
	v_fma_f32 v176, v12, v4, v176                              // 00000000A184: D1CB00B0 06C2090C
	v_fma_f32 v177, v13, v4, v177                              // 00000000A18C: D1CB00B1 06C6090D
	v_fma_f32 v178, v14, v4, v178                              // 00000000A194: D1CB00B2 06CA090E
	v_fma_f32 v179, v15, v4, v179                              // 00000000A19C: D1CB00B3 06CE090F
	v_mfma_f32_16x16x32_fp8_fp8 v[12:15], a[152:153], a[8:9], 0// 00000000A1A4: D3F3000C 1A021198
	buffer_load_dwordx4 a[140:143], v77, s[24:27], 0 offen offset:1024// 00000000A1AC: E05C1400 80868C4D
	v_mfma_f32_16x16x32_fp8_fp8 v[12:15], a[154:155], a[10:11], v[12:15]// 00000000A1B4: D3F3000C 1C32159A
	v_mfma_f32_16x16x32_fp8_fp8 v[12:15], a[156:157], a[12:13], v[12:15]// 00000000A1BC: D3F3000C 1C32199C
	ds_read_b128 a[88:91], v2 offset:18048                     // 00000000A1C4: DBFE4680 58000002
	ds_read_b128 a[92:95], v2 offset:18112                     // 00000000A1CC: DBFE46C0 5C000002
	v_mfma_f32_16x16x32_fp8_fp8 v[12:15], a[158:159], a[14:15], v[12:15]// 00000000A1D4: D3F3000C 1C321D9E
	v_fma_f32 v148, v8, v6, v148                               // 00000000A1DC: D1CB0094 06520D08
	v_fma_f32 v149, v9, v6, v149                               // 00000000A1E4: D1CB0095 06560D09
	v_fma_f32 v150, v10, v6, v150                              // 00000000A1EC: D1CB0096 065A0D0A
	v_fma_f32 v151, v11, v6, v151                              // 00000000A1F4: D1CB0097 065E0D0B
	v_mul_f32_dpp v4, v27, v54 row_newbcast:0 row_mask:0xf bank_mask:0xf// 00000000A1FC: 0A086CFA FF01501B
	v_mfma_f32_16x16x32_fp8_fp8 v[8:11], a[144:145], a[16:17], 0// 00000000A204: D3F30008 1A022190
	v_mfma_f32_16x16x32_fp8_fp8 v[8:11], a[146:147], a[18:19], v[8:11]// 00000000A20C: D3F30008 1C222592
	v_mfma_f32_16x16x32_fp8_fp8 v[8:11], a[148:149], a[20:21], v[8:11]// 00000000A214: D3F30008 1C222994
	ds_read_b128 a[96:99], v2 offset:18560                     // 00000000A21C: DBFE4880 60000002
	ds_read_b128 a[100:103], v2 offset:18624                   // 00000000A224: DBFE48C0 64000002
	v_mfma_f32_16x16x32_fp8_fp8 v[8:11], a[150:151], a[22:23], v[8:11]// 00000000A22C: D3F30008 1C222D96
	v_fma_f32 v180, v12, v6, v180                              // 00000000A234: D1CB00B4 06D20D0C
	v_fma_f32 v181, v13, v6, v181                              // 00000000A23C: D1CB00B5 06D60D0D
	v_fma_f32 v182, v14, v6, v182                              // 00000000A244: D1CB00B6 06DA0D0E
	v_fma_f32 v183, v15, v6, v183                              // 00000000A24C: D1CB00B7 06DE0D0F
	v_mfma_f32_16x16x32_fp8_fp8 v[12:15], a[152:153], a[16:17], 0// 00000000A254: D3F3000C 1A022198
	v_mfma_f32_16x16x32_fp8_fp8 v[12:15], a[154:155], a[18:19], v[12:15]// 00000000A25C: D3F3000C 1C32259A
	v_mfma_f32_16x16x32_fp8_fp8 v[12:15], a[156:157], a[20:21], v[12:15]// 00000000A264: D3F3000C 1C32299C
	ds_read_b128 a[104:107], v2 offset:19072                   // 00000000A26C: DBFE4A80 68000002
	ds_read_b128 a[108:111], v2 offset:19136                   // 00000000A274: DBFE4AC0 6C000002
	v_mfma_f32_16x16x32_fp8_fp8 v[12:15], a[158:159], a[22:23], v[12:15]// 00000000A27C: D3F3000C 1C322D9E
	v_fma_f32 v152, v8, v4, v152                               // 00000000A284: D1CB0098 06620908
	v_fma_f32 v153, v9, v4, v153                               // 00000000A28C: D1CB0099 06660909
	v_fma_f32 v154, v10, v4, v154                              // 00000000A294: D1CB009A 066A090A
	v_fma_f32 v155, v11, v4, v155                              // 00000000A29C: D1CB009B 066E090B
	v_mul_f32_dpp v6, v27, v55 row_newbcast:0 row_mask:0xf bank_mask:0xf// 00000000A2A4: 0A0C6EFA FF01501B
	v_mfma_f32_16x16x32_fp8_fp8 v[8:11], a[144:145], a[24:25], 0// 00000000A2AC: D3F30008 1A023190
	v_mfma_f32_16x16x32_fp8_fp8 v[8:11], a[146:147], a[26:27], v[8:11]// 00000000A2B4: D3F30008 1C223592
	v_mfma_f32_16x16x32_fp8_fp8 v[8:11], a[148:149], a[28:29], v[8:11]// 00000000A2BC: D3F30008 1C223994
	ds_read_b128 a[112:115], v2 offset:19584                   // 00000000A2C4: DBFE4C80 70000002
	ds_read_b128 a[116:119], v2 offset:19648                   // 00000000A2CC: DBFE4CC0 74000002
	v_mfma_f32_16x16x32_fp8_fp8 v[8:11], a[150:151], a[30:31], v[8:11]// 00000000A2D4: D3F30008 1C223D96
	v_fma_f32 v184, v12, v4, v184                              // 00000000A2DC: D1CB00B8 06E2090C
	v_fma_f32 v185, v13, v4, v185                              // 00000000A2E4: D1CB00B9 06E6090D
	v_fma_f32 v186, v14, v4, v186                              // 00000000A2EC: D1CB00BA 06EA090E
	v_fma_f32 v187, v15, v4, v187                              // 00000000A2F4: D1CB00BB 06EE090F
	v_mfma_f32_16x16x32_fp8_fp8 v[12:15], a[152:153], a[24:25], 0// 00000000A2FC: D3F3000C 1A023198
	v_mfma_f32_16x16x32_fp8_fp8 v[12:15], a[154:155], a[26:27], v[12:15]// 00000000A304: D3F3000C 1C32359A
	v_mfma_f32_16x16x32_fp8_fp8 v[12:15], a[156:157], a[28:29], v[12:15]// 00000000A30C: D3F3000C 1C32399C
	ds_read_b128 a[120:123], v2 offset:20096                   // 00000000A314: DBFE4E80 78000002
	ds_read_b128 a[124:127], v2 offset:20160                   // 00000000A31C: DBFE4EC0 7C000002
	v_mfma_f32_16x16x32_fp8_fp8 v[12:15], a[158:159], a[30:31], v[12:15]// 00000000A324: D3F3000C 1C323D9E
	v_fma_f32 v156, v8, v6, v156                               // 00000000A32C: D1CB009C 06720D08
	v_fma_f32 v157, v9, v6, v157                               // 00000000A334: D1CB009D 06760D09
	v_fma_f32 v158, v10, v6, v158                              // 00000000A33C: D1CB009E 067A0D0A
	v_fma_f32 v159, v11, v6, v159                              // 00000000A344: D1CB009F 067E0D0B
	v_mul_f32_dpp v4, v27, v56 row_newbcast:0 row_mask:0xf bank_mask:0xf// 00000000A34C: 0A0870FA FF01501B
	v_mfma_f32_16x16x32_fp8_fp8 v[8:11], a[144:145], a[32:33], 0// 00000000A354: D3F30008 1A024190
	v_mfma_f32_16x16x32_fp8_fp8 v[8:11], a[146:147], a[34:35], v[8:11]// 00000000A35C: D3F30008 1C224592
	v_mfma_f32_16x16x32_fp8_fp8 v[8:11], a[148:149], a[36:37], v[8:11]// 00000000A364: D3F30008 1C224994
	v_mfma_f32_16x16x32_fp8_fp8 v[8:11], a[150:151], a[38:39], v[8:11]// 00000000A36C: D3F30008 1C224D96
	v_fma_f32 v188, v12, v6, v188                              // 00000000A374: D1CB00BC 06F20D0C
	v_fma_f32 v189, v13, v6, v189                              // 00000000A37C: D1CB00BD 06F60D0D
	v_fma_f32 v190, v14, v6, v190                              // 00000000A384: D1CB00BE 06FA0D0E
	v_fma_f32 v191, v15, v6, v191                              // 00000000A38C: D1CB00BF 06FE0D0F
	v_mfma_f32_16x16x32_fp8_fp8 v[12:15], a[152:153], a[32:33], 0// 00000000A394: D3F3000C 1A024198
	v_mfma_f32_16x16x32_fp8_fp8 v[12:15], a[154:155], a[34:35], v[12:15]// 00000000A39C: D3F3000C 1C32459A
	v_mfma_f32_16x16x32_fp8_fp8 v[12:15], a[156:157], a[36:37], v[12:15]// 00000000A3A4: D3F3000C 1C32499C
	v_mfma_f32_16x16x32_fp8_fp8 v[12:15], a[158:159], a[38:39], v[12:15]// 00000000A3AC: D3F3000C 1C324D9E
	v_fma_f32 v160, v8, v4, v160                               // 00000000A3B4: D1CB00A0 06820908
	v_fma_f32 v161, v9, v4, v161                               // 00000000A3BC: D1CB00A1 06860909
	v_fma_f32 v162, v10, v4, v162                              // 00000000A3C4: D1CB00A2 068A090A
	v_fma_f32 v163, v11, v4, v163                              // 00000000A3CC: D1CB00A3 068E090B
	v_mul_f32_dpp v6, v27, v57 row_newbcast:0 row_mask:0xf bank_mask:0xf// 00000000A3D4: 0A0C72FA FF01501B
	v_mfma_f32_16x16x32_fp8_fp8 v[8:11], a[144:145], a[40:41], 0// 00000000A3DC: D3F30008 1A025190
	v_mfma_f32_16x16x32_fp8_fp8 v[8:11], a[146:147], a[42:43], v[8:11]// 00000000A3E4: D3F30008 1C225592
	v_mfma_f32_16x16x32_fp8_fp8 v[8:11], a[148:149], a[44:45], v[8:11]// 00000000A3EC: D3F30008 1C225994
	v_mfma_f32_16x16x32_fp8_fp8 v[8:11], a[150:151], a[46:47], v[8:11]// 00000000A3F4: D3F30008 1C225D96
	v_fma_f32 v192, v12, v4, v192                              // 00000000A3FC: D1CB00C0 0702090C
	v_fma_f32 v193, v13, v4, v193                              // 00000000A404: D1CB00C1 0706090D
	v_fma_f32 v194, v14, v4, v194                              // 00000000A40C: D1CB00C2 070A090E
	v_fma_f32 v195, v15, v4, v195                              // 00000000A414: D1CB00C3 070E090F
	v_mfma_f32_16x16x32_fp8_fp8 v[12:15], a[152:153], a[40:41], 0// 00000000A41C: D3F3000C 1A025198
	v_mfma_f32_16x16x32_fp8_fp8 v[12:15], a[154:155], a[42:43], v[12:15]// 00000000A424: D3F3000C 1C32559A
	v_mfma_f32_16x16x32_fp8_fp8 v[12:15], a[156:157], a[44:45], v[12:15]// 00000000A42C: D3F3000C 1C32599C
	v_mfma_f32_16x16x32_fp8_fp8 v[12:15], a[158:159], a[46:47], v[12:15]// 00000000A434: D3F3000C 1C325D9E
	v_fma_f32 v164, v8, v6, v164                               // 00000000A43C: D1CB00A4 06920D08
	v_fma_f32 v165, v9, v6, v165                               // 00000000A444: D1CB00A5 06960D09
	v_fma_f32 v166, v10, v6, v166                              // 00000000A44C: D1CB00A6 069A0D0A
	v_fma_f32 v167, v11, v6, v167                              // 00000000A454: D1CB00A7 069E0D0B
	v_mul_f32_dpp v4, v27, v58 row_newbcast:0 row_mask:0xf bank_mask:0xf// 00000000A45C: 0A0874FA FF01501B
	v_mfma_f32_16x16x32_fp8_fp8 v[8:11], a[144:145], a[48:49], 0// 00000000A464: D3F30008 1A026190
	v_mfma_f32_16x16x32_fp8_fp8 v[8:11], a[146:147], a[50:51], v[8:11]// 00000000A46C: D3F30008 1C226592
	v_mfma_f32_16x16x32_fp8_fp8 v[8:11], a[148:149], a[52:53], v[8:11]// 00000000A474: D3F30008 1C226994
	v_mfma_f32_16x16x32_fp8_fp8 v[8:11], a[150:151], a[54:55], v[8:11]// 00000000A47C: D3F30008 1C226D96
	v_fma_f32 v196, v12, v6, v196                              // 00000000A484: D1CB00C4 07120D0C
	v_fma_f32 v197, v13, v6, v197                              // 00000000A48C: D1CB00C5 07160D0D
	v_fma_f32 v198, v14, v6, v198                              // 00000000A494: D1CB00C6 071A0D0E
	v_fma_f32 v199, v15, v6, v199                              // 00000000A49C: D1CB00C7 071E0D0F
	v_mfma_f32_16x16x32_fp8_fp8 v[12:15], a[152:153], a[48:49], 0// 00000000A4A4: D3F3000C 1A026198
	v_mfma_f32_16x16x32_fp8_fp8 v[12:15], a[154:155], a[50:51], v[12:15]// 00000000A4AC: D3F3000C 1C32659A
	v_mfma_f32_16x16x32_fp8_fp8 v[12:15], a[156:157], a[52:53], v[12:15]// 00000000A4B4: D3F3000C 1C32699C
	v_mfma_f32_16x16x32_fp8_fp8 v[12:15], a[158:159], a[54:55], v[12:15]// 00000000A4BC: D3F3000C 1C326D9E
	v_fma_f32 v168, v8, v4, v168                               // 00000000A4C4: D1CB00A8 06A20908
	v_fma_f32 v169, v9, v4, v169                               // 00000000A4CC: D1CB00A9 06A60909
	v_fma_f32 v170, v10, v4, v170                              // 00000000A4D4: D1CB00AA 06AA090A
	v_fma_f32 v171, v11, v4, v171                              // 00000000A4DC: D1CB00AB 06AE090B
	v_mul_f32_dpp v6, v27, v59 row_newbcast:0 row_mask:0xf bank_mask:0xf// 00000000A4E4: 0A0C76FA FF01501B
	v_mfma_f32_16x16x32_fp8_fp8 v[8:11], a[144:145], a[56:57], 0// 00000000A4EC: D3F30008 1A027190
	v_mfma_f32_16x16x32_fp8_fp8 v[8:11], a[146:147], a[58:59], v[8:11]// 00000000A4F4: D3F30008 1C227592
	v_mfma_f32_16x16x32_fp8_fp8 v[8:11], a[148:149], a[60:61], v[8:11]// 00000000A4FC: D3F30008 1C227994
	s_add_u32 s60, 0x180, s80                                  // 00000000A504: 803C50FF 00000180
	s_cmp_lt_u32 s60, s81                                      // 00000000A50C: BF0A513C
	s_cselect_b32 s57, s57, 0                                  // 00000000A510: 85398039
	s_cselect_b32 s3, s3, 0                                    // 00000000A514: 85038003
	v_mfma_f32_16x16x32_fp8_fp8 v[8:11], a[150:151], a[62:63], v[8:11]// 00000000A518: D3F30008 1C227D96
	s_add_u32 s60, 0x100, s80                                  // 00000000A520: 803C50FF 00000100
	s_cmp_lt_u32 s60, s81                                      // 00000000A528: BF0A513C
	s_cselect_b32 s58, s58, 0                                  // 00000000A52C: 853A803A
	v_fma_f32 v200, v12, v4, v200                              // 00000000A530: D1CB00C8 0722090C
	v_fma_f32 v201, v13, v4, v201                              // 00000000A538: D1CB00C9 0726090D
	v_fma_f32 v202, v14, v4, v202                              // 00000000A540: D1CB00CA 072A090E
	v_fma_f32 v203, v15, v4, v203                              // 00000000A548: D1CB00CB 072E090F
	v_mfma_f32_16x16x32_fp8_fp8 v[12:15], a[152:153], a[56:57], 0// 00000000A550: D3F3000C 1A027198
	s_add_u32 s24, s58, s24                                    // 00000000A558: 8018183A
	s_addc_u32 s25, 0, s25                                     // 00000000A55C: 82191980
	v_mfma_f32_16x16x32_fp8_fp8 v[12:15], a[154:155], a[58:59], v[12:15]// 00000000A560: D3F3000C 1C32759A
	s_add_u32 s20, s57, s20                                    // 00000000A568: 80141439
	s_addc_u32 s21, 0, s21                                     // 00000000A56C: 82151580
	s_add_u32 s28, s3, s28                                     // 00000000A570: 801C1C03
	s_addc_u32 s29, 0, s29                                     // 00000000A574: 821D1D80
	v_mfma_f32_16x16x32_fp8_fp8 v[12:15], a[156:157], a[60:61], v[12:15]// 00000000A578: D3F3000C 1C32799C
	s_add_u32 s84, s83, s84                                    // 00000000A580: 80545453
	s_addc_u32 s85, 0, s85                                     // 00000000A584: 82555580
	v_mfma_f32_16x16x32_fp8_fp8 v[12:15], a[158:159], a[62:63], v[12:15]// 00000000A588: D3F3000C 1C327D9E
	v_fma_f32 v172, v8, v6, v172                               // 00000000A590: D1CB00AC 06B20D08
	v_fma_f32 v173, v9, v6, v173                               // 00000000A598: D1CB00AD 06B60D09
	v_fma_f32 v174, v10, v6, v174                              // 00000000A5A0: D1CB00AE 06BA0D0A
	v_fma_f32 v175, v11, v6, v175                              // 00000000A5A8: D1CB00AF 06BE0D0B
	v_fma_f32 v204, v12, v6, v204                              // 00000000A5B0: D1CB00CC 07320D0C
	v_fma_f32 v205, v13, v6, v205                              // 00000000A5B8: D1CB00CD 07360D0D
	v_fma_f32 v206, v14, v6, v206                              // 00000000A5C0: D1CB00CE 073A0D0E
	v_fma_f32 v207, v15, v6, v207                              // 00000000A5C8: D1CB00CF 073E0D0F
	s_addk_i32 s80, 0x80                                       // 00000000A5D0: B7500080
	s_cmp_lt_i32 s80, s81                                      // 00000000A5D4: BF045150
	s_cbranch_scc0 label_21D5                                  // 00000000A5D8: BF8402DB
	s_waitcnt vmcnt(2) lgkmcnt(0)                              // 00000000A5DC: BF8C0072
	s_barrier                                                  // 00000000A5E0: BF8A0000
	v_mov_b32_e32 v52, v44                                     // 00000000A5E4: 7E68032C
	v_mov_b32_e32 v53, v45                                     // 00000000A5E8: 7E6A032D
	v_mov_b32_e32 v54, v46                                     // 00000000A5EC: 7E6C032E
	v_mov_b32_e32 v55, v47                                     // 00000000A5F0: 7E6E032F
	v_mov_b32_e32 v56, v48                                     // 00000000A5F4: 7E700330
	v_mov_b32_e32 v57, v49                                     // 00000000A5F8: 7E720331
	v_mov_b32_e32 v58, v50                                     // 00000000A5FC: 7E740332
	v_mov_b32_e32 v59, v51                                     // 00000000A600: 7E760333
	v_mul_f32_dpp v4, v24, v52 row_newbcast:0 row_mask:0xf bank_mask:0xf// 00000000A604: 0A0868FA FF015018
	v_mfma_f32_16x16x32_fp8_fp8 v[8:11], a[128:129], a[64:65], 0// 00000000A60C: D3F30008 1A028180
	buffer_load_dword v27, v23, s[32:35], 0 offen              // 00000000A614: E0501000 80081B17
	buffer_load_dwordx4 a[144:147], v76, s[84:87], 0 offen     // 00000000A61C: E05C1000 8095904C
	v_mfma_f32_16x16x32_fp8_fp8 v[8:11], a[130:131], a[66:67], v[8:11]// 00000000A624: D3F30008 1C228582
	v_mfma_f32_16x16x32_fp8_fp8 v[8:11], a[132:133], a[68:69], v[8:11]// 00000000A62C: D3F30008 1C228984
	v_mfma_f32_16x16x32_fp8_fp8 v[8:11], a[134:135], a[70:71], v[8:11]// 00000000A634: D3F30008 1C228D86
	v_mul_f32_dpp v6, v24, v53 row_newbcast:0 row_mask:0xf bank_mask:0xf// 00000000A63C: 0A0C6AFA FF015018
	v_mfma_f32_16x16x32_fp8_fp8 v[12:15], a[128:129], a[72:73], 0// 00000000A644: D3F3000C 1A029180
	buffer_load_dwordx4 a[148:151], v76, s[84:87], 0 offen offset:1024// 00000000A64C: E05C1400 8095944C
	v_mfma_f32_16x16x32_fp8_fp8 v[12:15], a[130:131], a[74:75], v[12:15]// 00000000A654: D3F3000C 1C329582
	v_mfma_f32_16x16x32_fp8_fp8 v[12:15], a[132:133], a[76:77], v[12:15]// 00000000A65C: D3F3000C 1C329984
	v_mfma_f32_16x16x32_fp8_fp8 v[12:15], a[134:135], a[78:79], v[12:15]// 00000000A664: D3F3000C 1C329D86
	v_fma_f32 v80, v8, v4, v80                                 // 00000000A66C: D1CB0050 05420908
	v_fma_f32 v81, v9, v4, v81                                 // 00000000A674: D1CB0051 05460909
	v_fma_f32 v82, v10, v4, v82                                // 00000000A67C: D1CB0052 054A090A
	v_fma_f32 v83, v11, v4, v83                                // 00000000A684: D1CB0053 054E090B
	v_mul_f32_dpp v4, v24, v54 row_newbcast:0 row_mask:0xf bank_mask:0xf// 00000000A68C: 0A086CFA FF015018
	v_mfma_f32_16x16x32_fp8_fp8 v[8:11], a[128:129], a[80:81], 0// 00000000A694: D3F30008 1A02A180
	buffer_load_dwordx4 a[152:155], v77, s[84:87], 0 offen     // 00000000A69C: E05C1000 8095984D
	v_mfma_f32_16x16x32_fp8_fp8 v[8:11], a[130:131], a[82:83], v[8:11]// 00000000A6A4: D3F30008 1C22A582
	v_mfma_f32_16x16x32_fp8_fp8 v[8:11], a[132:133], a[84:85], v[8:11]// 00000000A6AC: D3F30008 1C22A984
	v_mfma_f32_16x16x32_fp8_fp8 v[8:11], a[134:135], a[86:87], v[8:11]// 00000000A6B4: D3F30008 1C22AD86
	v_fma_f32 v84, v12, v6, v84                                // 00000000A6BC: D1CB0054 05520D0C
	v_fma_f32 v85, v13, v6, v85                                // 00000000A6C4: D1CB0055 05560D0D
	v_fma_f32 v86, v14, v6, v86                                // 00000000A6CC: D1CB0056 055A0D0E
	v_fma_f32 v87, v15, v6, v87                                // 00000000A6D4: D1CB0057 055E0D0F
	v_mul_f32_dpp v6, v24, v55 row_newbcast:0 row_mask:0xf bank_mask:0xf// 00000000A6DC: 0A0C6EFA FF015018
	v_mfma_f32_16x16x32_fp8_fp8 v[12:15], a[128:129], a[88:89], 0// 00000000A6E4: D3F3000C 1A02B180
	buffer_load_dwordx4 a[156:159], v77, s[84:87], 0 offen offset:1024// 00000000A6EC: E05C1400 80959C4D
	buffer_load_dword v60, s[20:23], 0 offen lds               // 00000000A6F4: E0511000 8005003C
	s_add_u32 m0, 0x100, s49                                   // 00000000A6FC: 807C31FF 00000100
	v_mfma_f32_16x16x32_fp8_fp8 v[12:15], a[130:131], a[90:91], v[12:15]// 00000000A704: D3F3000C 1C32B582
	v_mfma_f32_16x16x32_fp8_fp8 v[12:15], a[132:133], a[92:93], v[12:15]// 00000000A70C: D3F3000C 1C32B984
	buffer_load_dword v61, s[20:23], 0 offen lds               // 00000000A714: E0511000 8005003D
	s_add_u32 m0, 0x200, s49                                   // 00000000A71C: 807C31FF 00000200
	v_mfma_f32_16x16x32_fp8_fp8 v[12:15], a[134:135], a[94:95], v[12:15]// 00000000A724: D3F3000C 1C32BD86
	v_fma_f32 v88, v8, v4, v88                                 // 00000000A72C: D1CB0058 05620908
	v_fma_f32 v89, v9, v4, v89                                 // 00000000A734: D1CB0059 05660909
	v_fma_f32 v90, v10, v4, v90                                // 00000000A73C: D1CB005A 056A090A
	v_fma_f32 v91, v11, v4, v91                                // 00000000A744: D1CB005B 056E090B
	v_mul_f32_dpp v4, v24, v56 row_newbcast:0 row_mask:0xf bank_mask:0xf// 00000000A74C: 0A0870FA FF015018
	v_mfma_f32_16x16x32_fp8_fp8 v[8:11], a[128:129], a[96:97], 0// 00000000A754: D3F30008 1A02C180
	buffer_load_dword v62, s[20:23], 0 offen lds               // 00000000A75C: E0511000 8005003E
	s_add_u32 m0, 0x300, s49                                   // 00000000A764: 807C31FF 00000300
	v_mfma_f32_16x16x32_fp8_fp8 v[8:11], a[130:131], a[98:99], v[8:11]// 00000000A76C: D3F30008 1C22C582
	v_mfma_f32_16x16x32_fp8_fp8 v[8:11], a[132:133], a[100:101], v[8:11]// 00000000A774: D3F30008 1C22C984
	buffer_load_dword v63, s[20:23], 0 offen lds               // 00000000A77C: E0511000 8005003F
	s_add_u32 m0, 0x400, s49                                   // 00000000A784: 807C31FF 00000400
	v_mfma_f32_16x16x32_fp8_fp8 v[8:11], a[134:135], a[102:103], v[8:11]// 00000000A78C: D3F30008 1C22CD86
	v_fma_f32 v92, v12, v6, v92                                // 00000000A794: D1CB005C 05720D0C
	v_fma_f32 v93, v13, v6, v93                                // 00000000A79C: D1CB005D 05760D0D
	v_fma_f32 v94, v14, v6, v94                                // 00000000A7A4: D1CB005E 057A0D0E
	v_fma_f32 v95, v15, v6, v95                                // 00000000A7AC: D1CB005F 057E0D0F
	v_mul_f32_dpp v6, v24, v57 row_newbcast:0 row_mask:0xf bank_mask:0xf// 00000000A7B4: 0A0C72FA FF015018
	v_mfma_f32_16x16x32_fp8_fp8 v[12:15], a[128:129], a[104:105], 0// 00000000A7BC: D3F3000C 1A02D180
	buffer_load_dword v64, s[20:23], 0 offen lds               // 00000000A7C4: E0511000 80050040
	s_add_u32 m0, 0x500, s49                                   // 00000000A7CC: 807C31FF 00000500
	v_mfma_f32_16x16x32_fp8_fp8 v[12:15], a[130:131], a[106:107], v[12:15]// 00000000A7D4: D3F3000C 1C32D582
	v_mfma_f32_16x16x32_fp8_fp8 v[12:15], a[132:133], a[108:109], v[12:15]// 00000000A7DC: D3F3000C 1C32D984
	buffer_load_dword v65, s[20:23], 0 offen lds               // 00000000A7E4: E0511000 80050041
	s_add_u32 m0, 0x600, s49                                   // 00000000A7EC: 807C31FF 00000600
	v_mfma_f32_16x16x32_fp8_fp8 v[12:15], a[134:135], a[110:111], v[12:15]// 00000000A7F4: D3F3000C 1C32DD86
	v_fma_f32 v96, v8, v4, v96                                 // 00000000A7FC: D1CB0060 05820908
	v_fma_f32 v97, v9, v4, v97                                 // 00000000A804: D1CB0061 05860909
	v_fma_f32 v98, v10, v4, v98                                // 00000000A80C: D1CB0062 058A090A
	v_fma_f32 v99, v11, v4, v99                                // 00000000A814: D1CB0063 058E090B
	v_mul_f32_dpp v4, v24, v58 row_newbcast:0 row_mask:0xf bank_mask:0xf// 00000000A81C: 0A0874FA FF015018
	v_mfma_f32_16x16x32_fp8_fp8 v[8:11], a[128:129], a[112:113], 0// 00000000A824: D3F30008 1A02E180
	buffer_load_dword v66, s[20:23], 0 offen lds               // 00000000A82C: E0511000 80050042
	s_add_u32 m0, 0x700, s49                                   // 00000000A834: 807C31FF 00000700
	v_mfma_f32_16x16x32_fp8_fp8 v[8:11], a[130:131], a[114:115], v[8:11]// 00000000A83C: D3F30008 1C22E582
	v_mfma_f32_16x16x32_fp8_fp8 v[8:11], a[132:133], a[116:117], v[8:11]// 00000000A844: D3F30008 1C22E984
	buffer_load_dword v67, s[20:23], 0 offen lds               // 00000000A84C: E0511000 80050043
	s_add_u32 m0, 0x800, s49                                   // 00000000A854: 807C31FF 00000800
	v_mfma_f32_16x16x32_fp8_fp8 v[8:11], a[134:135], a[118:119], v[8:11]// 00000000A85C: D3F30008 1C22ED86
	v_fma_f32 v100, v12, v6, v100                              // 00000000A864: D1CB0064 05920D0C
	v_fma_f32 v101, v13, v6, v101                              // 00000000A86C: D1CB0065 05960D0D
	v_fma_f32 v102, v14, v6, v102                              // 00000000A874: D1CB0066 059A0D0E
	v_fma_f32 v103, v15, v6, v103                              // 00000000A87C: D1CB0067 059E0D0F
	v_mul_f32_dpp v6, v24, v59 row_newbcast:0 row_mask:0xf bank_mask:0xf// 00000000A884: 0A0C76FA FF015018
	v_mfma_f32_16x16x32_fp8_fp8 v[12:15], a[128:129], a[120:121], 0// 00000000A88C: D3F3000C 1A02F180
	buffer_load_dword v68, s[20:23], 0 offen lds               // 00000000A894: E0511000 80050044
	s_add_u32 m0, 0x900, s49                                   // 00000000A89C: 807C31FF 00000900
	v_mfma_f32_16x16x32_fp8_fp8 v[12:15], a[130:131], a[122:123], v[12:15]// 00000000A8A4: D3F3000C 1C32F582
	v_mfma_f32_16x16x32_fp8_fp8 v[12:15], a[132:133], a[124:125], v[12:15]// 00000000A8AC: D3F3000C 1C32F984
	buffer_load_dword v69, s[20:23], 0 offen lds               // 00000000A8B4: E0511000 80050045
	s_add_u32 m0, 0xa00, s49                                   // 00000000A8BC: 807C31FF 00000A00
	v_mfma_f32_16x16x32_fp8_fp8 v[12:15], a[134:135], a[126:127], v[12:15]// 00000000A8C4: D3F3000C 1C32FD86
	v_fma_f32 v104, v8, v4, v104                               // 00000000A8CC: D1CB0068 05A20908
	v_fma_f32 v105, v9, v4, v105                               // 00000000A8D4: D1CB0069 05A60909
	v_fma_f32 v106, v10, v4, v106                              // 00000000A8DC: D1CB006A 05AA090A
	v_fma_f32 v107, v11, v4, v107                              // 00000000A8E4: D1CB006B 05AE090B
	s_waitcnt vmcnt(15)                                        // 00000000A8EC: BF8C0F7F
	v_mul_f32_dpp v4, v24, v52 row_newbcast:0 row_mask:0xf bank_mask:0xf// 00000000A8F0: 0A0868FA FF015018
	v_mfma_f32_16x16x32_fp8_fp8 v[8:11], a[136:137], a[64:65], 0// 00000000A8F8: D3F30008 1A028188
	buffer_load_dword v70, s[20:23], 0 offen lds               // 00000000A900: E0511000 80050046
	s_add_u32 m0, 0xb00, s49                                   // 00000000A908: 807C31FF 00000B00
	v_mfma_f32_16x16x32_fp8_fp8 v[8:11], a[138:139], a[66:67], v[8:11]// 00000000A910: D3F30008 1C22858A
	v_mfma_f32_16x16x32_fp8_fp8 v[8:11], a[140:141], a[68:69], v[8:11]// 00000000A918: D3F30008 1C22898C
	buffer_load_dword v71, s[20:23], 0 offen lds               // 00000000A920: E0511000 80050047
	s_add_u32 m0, 0xc00, s49                                   // 00000000A928: 807C31FF 00000C00
	v_mfma_f32_16x16x32_fp8_fp8 v[8:11], a[142:143], a[70:71], v[8:11]// 00000000A930: D3F30008 1C228D8E
	v_fma_f32 v108, v12, v6, v108                              // 00000000A938: D1CB006C 05B20D0C
	v_fma_f32 v109, v13, v6, v109                              // 00000000A940: D1CB006D 05B60D0D
	v_fma_f32 v110, v14, v6, v110                              // 00000000A948: D1CB006E 05BA0D0E
	v_fma_f32 v111, v15, v6, v111                              // 00000000A950: D1CB006F 05BE0D0F
	v_mul_f32_dpp v6, v24, v53 row_newbcast:0 row_mask:0xf bank_mask:0xf// 00000000A958: 0A0C6AFA FF015018
	v_mfma_f32_16x16x32_fp8_fp8 v[12:15], a[136:137], a[72:73], 0// 00000000A960: D3F3000C 1A029188
	buffer_load_dword v72, s[20:23], 0 offen lds               // 00000000A968: E0511000 80050048
	s_add_u32 m0, 0xd00, s49                                   // 00000000A970: 807C31FF 00000D00
	v_mfma_f32_16x16x32_fp8_fp8 v[12:15], a[138:139], a[74:75], v[12:15]// 00000000A978: D3F3000C 1C32958A
	v_mfma_f32_16x16x32_fp8_fp8 v[12:15], a[140:141], a[76:77], v[12:15]// 00000000A980: D3F3000C 1C32998C
	buffer_load_dword v73, s[20:23], 0 offen lds               // 00000000A988: E0511000 80050049
	s_add_u32 m0, 0xe00, s49                                   // 00000000A990: 807C31FF 00000E00
	v_mfma_f32_16x16x32_fp8_fp8 v[12:15], a[142:143], a[78:79], v[12:15]// 00000000A998: D3F3000C 1C329D8E
	v_fma_f32 v112, v8, v4, v112                               // 00000000A9A0: D1CB0070 05C20908
	v_fma_f32 v113, v9, v4, v113                               // 00000000A9A8: D1CB0071 05C60909
	v_fma_f32 v114, v10, v4, v114                              // 00000000A9B0: D1CB0072 05CA090A
	v_fma_f32 v115, v11, v4, v115                              // 00000000A9B8: D1CB0073 05CE090B
	v_mul_f32_dpp v4, v24, v54 row_newbcast:0 row_mask:0xf bank_mask:0xf// 00000000A9C0: 0A086CFA FF015018
	v_mfma_f32_16x16x32_fp8_fp8 v[8:11], a[136:137], a[80:81], 0// 00000000A9C8: D3F30008 1A02A188
	buffer_load_dword v74, s[20:23], 0 offen lds               // 00000000A9D0: E0511000 8005004A
	s_add_u32 m0, 0xf00, s49                                   // 00000000A9D8: 807C31FF 00000F00
	v_mfma_f32_16x16x32_fp8_fp8 v[8:11], a[138:139], a[82:83], v[8:11]// 00000000A9E0: D3F30008 1C22A58A
	v_mfma_f32_16x16x32_fp8_fp8 v[8:11], a[140:141], a[84:85], v[8:11]// 00000000A9E8: D3F30008 1C22A98C
	buffer_load_dword v75, s[20:23], 0 offen lds               // 00000000A9F0: E0511000 8005004B
	s_add_u32 m0, 0, s48                                       // 00000000A9F8: 807C3080
	v_mfma_f32_16x16x32_fp8_fp8 v[8:11], a[142:143], a[86:87], v[8:11]// 00000000A9FC: D3F30008 1C22AD8E
	v_fma_f32 v116, v12, v6, v116                              // 00000000AA04: D1CB0074 05D20D0C
	v_fma_f32 v117, v13, v6, v117                              // 00000000AA0C: D1CB0075 05D60D0D
	v_fma_f32 v118, v14, v6, v118                              // 00000000AA14: D1CB0076 05DA0D0E
	v_fma_f32 v119, v15, v6, v119                              // 00000000AA1C: D1CB0077 05DE0D0F
	v_mul_f32_dpp v6, v24, v55 row_newbcast:0 row_mask:0xf bank_mask:0xf// 00000000AA24: 0A0C6EFA FF015018
	v_mfma_f32_16x16x32_fp8_fp8 v[12:15], a[136:137], a[88:89], 0// 00000000AA2C: D3F3000C 1A02B188
	buffer_load_dword v44, v28, s[28:31], 0 offen              // 00000000AA34: E0501000 80072C1C
	v_mfma_f32_16x16x32_fp8_fp8 v[12:15], a[138:139], a[90:91], v[12:15]// 00000000AA3C: D3F3000C 1C32B58A
	v_mfma_f32_16x16x32_fp8_fp8 v[12:15], a[140:141], a[92:93], v[12:15]// 00000000AA44: D3F3000C 1C32B98C
	buffer_load_dword v45, v29, s[28:31], 0 offen              // 00000000AA4C: E0501000 80072D1D
	v_mfma_f32_16x16x32_fp8_fp8 v[12:15], a[142:143], a[94:95], v[12:15]// 00000000AA54: D3F3000C 1C32BD8E
	v_fma_f32 v120, v8, v4, v120                               // 00000000AA5C: D1CB0078 05E20908
	v_fma_f32 v121, v9, v4, v121                               // 00000000AA64: D1CB0079 05E60909
	v_fma_f32 v122, v10, v4, v122                              // 00000000AA6C: D1CB007A 05EA090A
	v_fma_f32 v123, v11, v4, v123                              // 00000000AA74: D1CB007B 05EE090B
	v_mul_f32_dpp v4, v24, v56 row_newbcast:0 row_mask:0xf bank_mask:0xf// 00000000AA7C: 0A0870FA FF015018
	v_mfma_f32_16x16x32_fp8_fp8 v[8:11], a[136:137], a[96:97], 0// 00000000AA84: D3F30008 1A02C188
	buffer_load_dword v46, v30, s[28:31], 0 offen              // 00000000AA8C: E0501000 80072E1E
	v_mfma_f32_16x16x32_fp8_fp8 v[8:11], a[138:139], a[98:99], v[8:11]// 00000000AA94: D3F30008 1C22C58A
	v_mfma_f32_16x16x32_fp8_fp8 v[8:11], a[140:141], a[100:101], v[8:11]// 00000000AA9C: D3F30008 1C22C98C
	buffer_load_dword v47, v31, s[28:31], 0 offen              // 00000000AAA4: E0501000 80072F1F
	v_mfma_f32_16x16x32_fp8_fp8 v[8:11], a[142:143], a[102:103], v[8:11]// 00000000AAAC: D3F30008 1C22CD8E
	v_fma_f32 v124, v12, v6, v124                              // 00000000AAB4: D1CB007C 05F20D0C
	v_fma_f32 v125, v13, v6, v125                              // 00000000AABC: D1CB007D 05F60D0D
	v_fma_f32 v126, v14, v6, v126                              // 00000000AAC4: D1CB007E 05FA0D0E
	v_fma_f32 v127, v15, v6, v127                              // 00000000AACC: D1CB007F 05FE0D0F
	v_mul_f32_dpp v6, v24, v57 row_newbcast:0 row_mask:0xf bank_mask:0xf// 00000000AAD4: 0A0C72FA FF015018
	v_mfma_f32_16x16x32_fp8_fp8 v[12:15], a[136:137], a[104:105], 0// 00000000AADC: D3F3000C 1A02D188
	buffer_load_dword v48, v32, s[28:31], 0 offen              // 00000000AAE4: E0501000 80073020
	v_mfma_f32_16x16x32_fp8_fp8 v[12:15], a[138:139], a[106:107], v[12:15]// 00000000AAEC: D3F3000C 1C32D58A
	v_mfma_f32_16x16x32_fp8_fp8 v[12:15], a[140:141], a[108:109], v[12:15]// 00000000AAF4: D3F3000C 1C32D98C
	buffer_load_dword v49, v33, s[28:31], 0 offen              // 00000000AAFC: E0501000 80073121
	v_mfma_f32_16x16x32_fp8_fp8 v[12:15], a[142:143], a[110:111], v[12:15]// 00000000AB04: D3F3000C 1C32DD8E
	v_fma_f32 v128, v8, v4, v128                               // 00000000AB0C: D1CB0080 06020908
	v_fma_f32 v129, v9, v4, v129                               // 00000000AB14: D1CB0081 06060909
	v_fma_f32 v130, v10, v4, v130                              // 00000000AB1C: D1CB0082 060A090A
	v_fma_f32 v131, v11, v4, v131                              // 00000000AB24: D1CB0083 060E090B
	v_mul_f32_dpp v4, v24, v58 row_newbcast:0 row_mask:0xf bank_mask:0xf// 00000000AB2C: 0A0874FA FF015018
	v_mfma_f32_16x16x32_fp8_fp8 v[8:11], a[136:137], a[112:113], 0// 00000000AB34: D3F30008 1A02E188
	buffer_load_dword v50, v34, s[28:31], 0 offen              // 00000000AB3C: E0501000 80073222
	v_mfma_f32_16x16x32_fp8_fp8 v[8:11], a[138:139], a[114:115], v[8:11]// 00000000AB44: D3F30008 1C22E58A
	v_mfma_f32_16x16x32_fp8_fp8 v[8:11], a[140:141], a[116:117], v[8:11]// 00000000AB4C: D3F30008 1C22E98C
	buffer_load_dword v51, v35, s[28:31], 0 offen              // 00000000AB54: E0501000 80073323
	v_mfma_f32_16x16x32_fp8_fp8 v[8:11], a[142:143], a[118:119], v[8:11]// 00000000AB5C: D3F30008 1C22ED8E
	v_fma_f32 v132, v12, v6, v132                              // 00000000AB64: D1CB0084 06120D0C
	v_fma_f32 v133, v13, v6, v133                              // 00000000AB6C: D1CB0085 06160D0D
	v_fma_f32 v134, v14, v6, v134                              // 00000000AB74: D1CB0086 061A0D0E
	v_fma_f32 v135, v15, v6, v135                              // 00000000AB7C: D1CB0087 061E0D0F
	v_mul_f32_dpp v6, v24, v59 row_newbcast:0 row_mask:0xf bank_mask:0xf// 00000000AB84: 0A0C76FA FF015018
	v_mfma_f32_16x16x32_fp8_fp8 v[12:15], a[136:137], a[120:121], 0// 00000000AB8C: D3F3000C 1A02F188
	v_mfma_f32_16x16x32_fp8_fp8 v[12:15], a[138:139], a[122:123], v[12:15]// 00000000AB94: D3F3000C 1C32F58A
	s_add_u32 s60, 0x80, s80                                   // 00000000AB9C: 803C50FF 00000080
	s_cmp_lt_u32 s60, s81                                      // 00000000ABA4: BF0A513C
	s_cselect_b32 s83, s83, 0                                  // 00000000ABA8: 85538053
	s_cselect_b32 s4, s4, 0                                    // 00000000ABAC: 85048004
	v_mfma_f32_16x16x32_fp8_fp8 v[12:15], a[140:141], a[124:125], v[12:15]// 00000000ABB0: D3F3000C 1C32F98C
	s_add_u32 s32, s4, s32                                     // 00000000ABB8: 80202004
	s_addc_u32 s33, 0, s33                                     // 00000000ABBC: 82212180
	v_mfma_f32_16x16x32_fp8_fp8 v[12:15], a[142:143], a[126:127], v[12:15]// 00000000ABC0: D3F3000C 1C32FD8E
	v_fma_f32 v136, v8, v4, v136                               // 00000000ABC8: D1CB0088 06220908
	v_fma_f32 v137, v9, v4, v137                               // 00000000ABD0: D1CB0089 06260909
	v_fma_f32 v138, v10, v4, v138                              // 00000000ABD8: D1CB008A 062A090A
	v_fma_f32 v139, v11, v4, v139                              // 00000000ABE0: D1CB008B 062E090B
	v_fma_f32 v140, v12, v6, v140                              // 00000000ABE8: D1CB008C 06320D0C
	v_fma_f32 v141, v13, v6, v141                              // 00000000ABF0: D1CB008D 06360D0D
	v_fma_f32 v142, v14, v6, v142                              // 00000000ABF8: D1CB008E 063A0D0E
	v_fma_f32 v143, v15, v6, v143                              // 00000000AC00: D1CB008F 063E0D0F
	s_waitcnt vmcnt(24)                                        // 00000000AC08: BF8C4F78
	v_mul_f32_dpp v4, v27, v52 row_newbcast:0 row_mask:0xf bank_mask:0xf// 00000000AC0C: 0A0868FA FF01501B
	v_mfma_f32_16x16x32_fp8_fp8 v[8:11], a[144:145], a[64:65], 0// 00000000AC14: D3F30008 1A028190
	buffer_load_dword v24, v22, s[32:35], 0 offen              // 00000000AC1C: E0501000 80081816
	buffer_load_dwordx4 a[128:131], v76, s[24:27], 0 offen     // 00000000AC24: E05C1000 8086804C
	v_mfma_f32_16x16x32_fp8_fp8 v[8:11], a[146:147], a[66:67], v[8:11]// 00000000AC2C: D3F30008 1C228592
	v_mfma_f32_16x16x32_fp8_fp8 v[8:11], a[148:149], a[68:69], v[8:11]// 00000000AC34: D3F30008 1C228994
	ds_read_b128 a[0:3], v2                                    // 00000000AC3C: DBFE0000 00000002
	ds_read_b128 a[4:7], v2 offset:64                          // 00000000AC44: DBFE0040 04000002
	v_mfma_f32_16x16x32_fp8_fp8 v[8:11], a[150:151], a[70:71], v[8:11]// 00000000AC4C: D3F30008 1C228D96
	v_mfma_f32_16x16x32_fp8_fp8 v[12:15], a[152:153], a[64:65], 0// 00000000AC54: D3F3000C 1A028198
	buffer_load_dwordx4 a[132:135], v76, s[24:27], 0 offen offset:1024// 00000000AC5C: E05C1400 8086844C
	v_mfma_f32_16x16x32_fp8_fp8 v[12:15], a[154:155], a[66:67], v[12:15]// 00000000AC64: D3F3000C 1C32859A
	v_mfma_f32_16x16x32_fp8_fp8 v[12:15], a[156:157], a[68:69], v[12:15]// 00000000AC6C: D3F3000C 1C32899C
	ds_read_b128 a[8:11], v2 offset:512                        // 00000000AC74: DBFE0200 08000002
	ds_read_b128 a[12:15], v2 offset:576                       // 00000000AC7C: DBFE0240 0C000002
	v_mfma_f32_16x16x32_fp8_fp8 v[12:15], a[158:159], a[70:71], v[12:15]// 00000000AC84: D3F3000C 1C328D9E
	v_fma_f32 v144, v8, v4, v144                               // 00000000AC8C: D1CB0090 06420908
	v_fma_f32 v145, v9, v4, v145                               // 00000000AC94: D1CB0091 06460909
	v_fma_f32 v146, v10, v4, v146                              // 00000000AC9C: D1CB0092 064A090A
	v_fma_f32 v147, v11, v4, v147                              // 00000000ACA4: D1CB0093 064E090B
	v_mul_f32_dpp v6, v27, v53 row_newbcast:0 row_mask:0xf bank_mask:0xf// 00000000ACAC: 0A0C6AFA FF01501B
	v_mfma_f32_16x16x32_fp8_fp8 v[8:11], a[144:145], a[72:73], 0// 00000000ACB4: D3F30008 1A029190
	buffer_load_dwordx4 a[136:139], v77, s[24:27], 0 offen     // 00000000ACBC: E05C1000 8086884D
	v_mfma_f32_16x16x32_fp8_fp8 v[8:11], a[146:147], a[74:75], v[8:11]// 00000000ACC4: D3F30008 1C229592
	v_mfma_f32_16x16x32_fp8_fp8 v[8:11], a[148:149], a[76:77], v[8:11]// 00000000ACCC: D3F30008 1C229994
	ds_read_b128 a[16:19], v2 offset:1024                      // 00000000ACD4: DBFE0400 10000002
	ds_read_b128 a[20:23], v2 offset:1088                      // 00000000ACDC: DBFE0440 14000002
	v_mfma_f32_16x16x32_fp8_fp8 v[8:11], a[150:151], a[78:79], v[8:11]// 00000000ACE4: D3F30008 1C229D96
	v_fma_f32 v176, v12, v4, v176                              // 00000000ACEC: D1CB00B0 06C2090C
	v_fma_f32 v177, v13, v4, v177                              // 00000000ACF4: D1CB00B1 06C6090D
	v_fma_f32 v178, v14, v4, v178                              // 00000000ACFC: D1CB00B2 06CA090E
	v_fma_f32 v179, v15, v4, v179                              // 00000000AD04: D1CB00B3 06CE090F
	v_mfma_f32_16x16x32_fp8_fp8 v[12:15], a[152:153], a[72:73], 0// 00000000AD0C: D3F3000C 1A029198
	buffer_load_dwordx4 a[140:143], v77, s[24:27], 0 offen offset:1024// 00000000AD14: E05C1400 80868C4D
	v_mfma_f32_16x16x32_fp8_fp8 v[12:15], a[154:155], a[74:75], v[12:15]// 00000000AD1C: D3F3000C 1C32959A
	v_mfma_f32_16x16x32_fp8_fp8 v[12:15], a[156:157], a[76:77], v[12:15]// 00000000AD24: D3F3000C 1C32999C
	ds_read_b128 a[24:27], v2 offset:1536                      // 00000000AD2C: DBFE0600 18000002
	ds_read_b128 a[28:31], v2 offset:1600                      // 00000000AD34: DBFE0640 1C000002
	v_mfma_f32_16x16x32_fp8_fp8 v[12:15], a[158:159], a[78:79], v[12:15]// 00000000AD3C: D3F3000C 1C329D9E
	v_fma_f32 v148, v8, v6, v148                               // 00000000AD44: D1CB0094 06520D08
	v_fma_f32 v149, v9, v6, v149                               // 00000000AD4C: D1CB0095 06560D09
	v_fma_f32 v150, v10, v6, v150                              // 00000000AD54: D1CB0096 065A0D0A
	v_fma_f32 v151, v11, v6, v151                              // 00000000AD5C: D1CB0097 065E0D0B
	v_mul_f32_dpp v4, v27, v54 row_newbcast:0 row_mask:0xf bank_mask:0xf// 00000000AD64: 0A086CFA FF01501B
	v_mfma_f32_16x16x32_fp8_fp8 v[8:11], a[144:145], a[80:81], 0// 00000000AD6C: D3F30008 1A02A190
	v_mfma_f32_16x16x32_fp8_fp8 v[8:11], a[146:147], a[82:83], v[8:11]// 00000000AD74: D3F30008 1C22A592
	v_mfma_f32_16x16x32_fp8_fp8 v[8:11], a[148:149], a[84:85], v[8:11]// 00000000AD7C: D3F30008 1C22A994
	ds_read_b128 a[32:35], v2 offset:2048                      // 00000000AD84: DBFE0800 20000002
	ds_read_b128 a[36:39], v2 offset:2112                      // 00000000AD8C: DBFE0840 24000002
	v_mfma_f32_16x16x32_fp8_fp8 v[8:11], a[150:151], a[86:87], v[8:11]// 00000000AD94: D3F30008 1C22AD96
	v_fma_f32 v180, v12, v6, v180                              // 00000000AD9C: D1CB00B4 06D20D0C
	v_fma_f32 v181, v13, v6, v181                              // 00000000ADA4: D1CB00B5 06D60D0D
	v_fma_f32 v182, v14, v6, v182                              // 00000000ADAC: D1CB00B6 06DA0D0E
	v_fma_f32 v183, v15, v6, v183                              // 00000000ADB4: D1CB00B7 06DE0D0F
	v_mfma_f32_16x16x32_fp8_fp8 v[12:15], a[152:153], a[80:81], 0// 00000000ADBC: D3F3000C 1A02A198
	v_mfma_f32_16x16x32_fp8_fp8 v[12:15], a[154:155], a[82:83], v[12:15]// 00000000ADC4: D3F3000C 1C32A59A
	v_mfma_f32_16x16x32_fp8_fp8 v[12:15], a[156:157], a[84:85], v[12:15]// 00000000ADCC: D3F3000C 1C32A99C
	ds_read_b128 a[40:43], v2 offset:2560                      // 00000000ADD4: DBFE0A00 28000002
	ds_read_b128 a[44:47], v2 offset:2624                      // 00000000ADDC: DBFE0A40 2C000002
	v_mfma_f32_16x16x32_fp8_fp8 v[12:15], a[158:159], a[86:87], v[12:15]// 00000000ADE4: D3F3000C 1C32AD9E
	v_fma_f32 v152, v8, v4, v152                               // 00000000ADEC: D1CB0098 06620908
	v_fma_f32 v153, v9, v4, v153                               // 00000000ADF4: D1CB0099 06660909
	v_fma_f32 v154, v10, v4, v154                              // 00000000ADFC: D1CB009A 066A090A
	v_fma_f32 v155, v11, v4, v155                              // 00000000AE04: D1CB009B 066E090B
	v_mul_f32_dpp v6, v27, v55 row_newbcast:0 row_mask:0xf bank_mask:0xf// 00000000AE0C: 0A0C6EFA FF01501B
	v_mfma_f32_16x16x32_fp8_fp8 v[8:11], a[144:145], a[88:89], 0// 00000000AE14: D3F30008 1A02B190
	v_mfma_f32_16x16x32_fp8_fp8 v[8:11], a[146:147], a[90:91], v[8:11]// 00000000AE1C: D3F30008 1C22B592
	v_mfma_f32_16x16x32_fp8_fp8 v[8:11], a[148:149], a[92:93], v[8:11]// 00000000AE24: D3F30008 1C22B994
	ds_read_b128 a[48:51], v2 offset:3072                      // 00000000AE2C: DBFE0C00 30000002
	ds_read_b128 a[52:55], v2 offset:3136                      // 00000000AE34: DBFE0C40 34000002
	v_mfma_f32_16x16x32_fp8_fp8 v[8:11], a[150:151], a[94:95], v[8:11]// 00000000AE3C: D3F30008 1C22BD96
	v_fma_f32 v184, v12, v4, v184                              // 00000000AE44: D1CB00B8 06E2090C
	v_fma_f32 v185, v13, v4, v185                              // 00000000AE4C: D1CB00B9 06E6090D
	v_fma_f32 v186, v14, v4, v186                              // 00000000AE54: D1CB00BA 06EA090E
	v_fma_f32 v187, v15, v4, v187                              // 00000000AE5C: D1CB00BB 06EE090F
	v_mfma_f32_16x16x32_fp8_fp8 v[12:15], a[152:153], a[88:89], 0// 00000000AE64: D3F3000C 1A02B198
	v_mfma_f32_16x16x32_fp8_fp8 v[12:15], a[154:155], a[90:91], v[12:15]// 00000000AE6C: D3F3000C 1C32B59A
	v_mfma_f32_16x16x32_fp8_fp8 v[12:15], a[156:157], a[92:93], v[12:15]// 00000000AE74: D3F3000C 1C32B99C
	ds_read_b128 a[56:59], v2 offset:3584                      // 00000000AE7C: DBFE0E00 38000002
	ds_read_b128 a[60:63], v2 offset:3648                      // 00000000AE84: DBFE0E40 3C000002
	v_mfma_f32_16x16x32_fp8_fp8 v[12:15], a[158:159], a[94:95], v[12:15]// 00000000AE8C: D3F3000C 1C32BD9E
	v_fma_f32 v156, v8, v6, v156                               // 00000000AE94: D1CB009C 06720D08
	v_fma_f32 v157, v9, v6, v157                               // 00000000AE9C: D1CB009D 06760D09
	v_fma_f32 v158, v10, v6, v158                              // 00000000AEA4: D1CB009E 067A0D0A
	v_fma_f32 v159, v11, v6, v159                              // 00000000AEAC: D1CB009F 067E0D0B
	v_mul_f32_dpp v4, v27, v56 row_newbcast:0 row_mask:0xf bank_mask:0xf// 00000000AEB4: 0A0870FA FF01501B
	v_mfma_f32_16x16x32_fp8_fp8 v[8:11], a[144:145], a[96:97], 0// 00000000AEBC: D3F30008 1A02C190
	v_mfma_f32_16x16x32_fp8_fp8 v[8:11], a[146:147], a[98:99], v[8:11]// 00000000AEC4: D3F30008 1C22C592
	v_mfma_f32_16x16x32_fp8_fp8 v[8:11], a[148:149], a[100:101], v[8:11]// 00000000AECC: D3F30008 1C22C994
	v_mfma_f32_16x16x32_fp8_fp8 v[8:11], a[150:151], a[102:103], v[8:11]// 00000000AED4: D3F30008 1C22CD96
	v_fma_f32 v188, v12, v6, v188                              // 00000000AEDC: D1CB00BC 06F20D0C
	v_fma_f32 v189, v13, v6, v189                              // 00000000AEE4: D1CB00BD 06F60D0D
	v_fma_f32 v190, v14, v6, v190                              // 00000000AEEC: D1CB00BE 06FA0D0E
	v_fma_f32 v191, v15, v6, v191                              // 00000000AEF4: D1CB00BF 06FE0D0F
	v_mfma_f32_16x16x32_fp8_fp8 v[12:15], a[152:153], a[96:97], 0// 00000000AEFC: D3F3000C 1A02C198
	v_mfma_f32_16x16x32_fp8_fp8 v[12:15], a[154:155], a[98:99], v[12:15]// 00000000AF04: D3F3000C 1C32C59A
	v_mfma_f32_16x16x32_fp8_fp8 v[12:15], a[156:157], a[100:101], v[12:15]// 00000000AF0C: D3F3000C 1C32C99C
	v_mfma_f32_16x16x32_fp8_fp8 v[12:15], a[158:159], a[102:103], v[12:15]// 00000000AF14: D3F3000C 1C32CD9E
	v_fma_f32 v160, v8, v4, v160                               // 00000000AF1C: D1CB00A0 06820908
	v_fma_f32 v161, v9, v4, v161                               // 00000000AF24: D1CB00A1 06860909
	v_fma_f32 v162, v10, v4, v162                              // 00000000AF2C: D1CB00A2 068A090A
	v_fma_f32 v163, v11, v4, v163                              // 00000000AF34: D1CB00A3 068E090B
	v_mul_f32_dpp v6, v27, v57 row_newbcast:0 row_mask:0xf bank_mask:0xf// 00000000AF3C: 0A0C72FA FF01501B
	v_mfma_f32_16x16x32_fp8_fp8 v[8:11], a[144:145], a[104:105], 0// 00000000AF44: D3F30008 1A02D190
	v_mfma_f32_16x16x32_fp8_fp8 v[8:11], a[146:147], a[106:107], v[8:11]// 00000000AF4C: D3F30008 1C22D592
	v_mfma_f32_16x16x32_fp8_fp8 v[8:11], a[148:149], a[108:109], v[8:11]// 00000000AF54: D3F30008 1C22D994
	v_mfma_f32_16x16x32_fp8_fp8 v[8:11], a[150:151], a[110:111], v[8:11]// 00000000AF5C: D3F30008 1C22DD96
	v_fma_f32 v192, v12, v4, v192                              // 00000000AF64: D1CB00C0 0702090C
	v_fma_f32 v193, v13, v4, v193                              // 00000000AF6C: D1CB00C1 0706090D
	v_fma_f32 v194, v14, v4, v194                              // 00000000AF74: D1CB00C2 070A090E
	v_fma_f32 v195, v15, v4, v195                              // 00000000AF7C: D1CB00C3 070E090F
	v_mfma_f32_16x16x32_fp8_fp8 v[12:15], a[152:153], a[104:105], 0// 00000000AF84: D3F3000C 1A02D198
	v_mfma_f32_16x16x32_fp8_fp8 v[12:15], a[154:155], a[106:107], v[12:15]// 00000000AF8C: D3F3000C 1C32D59A
	v_mfma_f32_16x16x32_fp8_fp8 v[12:15], a[156:157], a[108:109], v[12:15]// 00000000AF94: D3F3000C 1C32D99C
	v_mfma_f32_16x16x32_fp8_fp8 v[12:15], a[158:159], a[110:111], v[12:15]// 00000000AF9C: D3F3000C 1C32DD9E
	v_fma_f32 v164, v8, v6, v164                               // 00000000AFA4: D1CB00A4 06920D08
	v_fma_f32 v165, v9, v6, v165                               // 00000000AFAC: D1CB00A5 06960D09
	v_fma_f32 v166, v10, v6, v166                              // 00000000AFB4: D1CB00A6 069A0D0A
	v_fma_f32 v167, v11, v6, v167                              // 00000000AFBC: D1CB00A7 069E0D0B
	v_mul_f32_dpp v4, v27, v58 row_newbcast:0 row_mask:0xf bank_mask:0xf// 00000000AFC4: 0A0874FA FF01501B
	v_mfma_f32_16x16x32_fp8_fp8 v[8:11], a[144:145], a[112:113], 0// 00000000AFCC: D3F30008 1A02E190
	v_mfma_f32_16x16x32_fp8_fp8 v[8:11], a[146:147], a[114:115], v[8:11]// 00000000AFD4: D3F30008 1C22E592
	v_mfma_f32_16x16x32_fp8_fp8 v[8:11], a[148:149], a[116:117], v[8:11]// 00000000AFDC: D3F30008 1C22E994
	v_mfma_f32_16x16x32_fp8_fp8 v[8:11], a[150:151], a[118:119], v[8:11]// 00000000AFE4: D3F30008 1C22ED96
	v_fma_f32 v196, v12, v6, v196                              // 00000000AFEC: D1CB00C4 07120D0C
	v_fma_f32 v197, v13, v6, v197                              // 00000000AFF4: D1CB00C5 07160D0D
	v_fma_f32 v198, v14, v6, v198                              // 00000000AFFC: D1CB00C6 071A0D0E
	v_fma_f32 v199, v15, v6, v199                              // 00000000B004: D1CB00C7 071E0D0F
	v_mfma_f32_16x16x32_fp8_fp8 v[12:15], a[152:153], a[112:113], 0// 00000000B00C: D3F3000C 1A02E198
	v_mfma_f32_16x16x32_fp8_fp8 v[12:15], a[154:155], a[114:115], v[12:15]// 00000000B014: D3F3000C 1C32E59A
	v_mfma_f32_16x16x32_fp8_fp8 v[12:15], a[156:157], a[116:117], v[12:15]// 00000000B01C: D3F3000C 1C32E99C
	v_mfma_f32_16x16x32_fp8_fp8 v[12:15], a[158:159], a[118:119], v[12:15]// 00000000B024: D3F3000C 1C32ED9E
	v_fma_f32 v168, v8, v4, v168                               // 00000000B02C: D1CB00A8 06A20908
	v_fma_f32 v169, v9, v4, v169                               // 00000000B034: D1CB00A9 06A60909
	v_fma_f32 v170, v10, v4, v170                              // 00000000B03C: D1CB00AA 06AA090A
	v_fma_f32 v171, v11, v4, v171                              // 00000000B044: D1CB00AB 06AE090B
	v_mul_f32_dpp v6, v27, v59 row_newbcast:0 row_mask:0xf bank_mask:0xf// 00000000B04C: 0A0C76FA FF01501B
	v_mfma_f32_16x16x32_fp8_fp8 v[8:11], a[144:145], a[120:121], 0// 00000000B054: D3F30008 1A02F190
	v_mfma_f32_16x16x32_fp8_fp8 v[8:11], a[146:147], a[122:123], v[8:11]// 00000000B05C: D3F30008 1C22F592
	v_mfma_f32_16x16x32_fp8_fp8 v[8:11], a[148:149], a[124:125], v[8:11]// 00000000B064: D3F30008 1C22F994
	s_add_u32 s60, 0x180, s80                                  // 00000000B06C: 803C50FF 00000180
	s_cmp_lt_u32 s60, s81                                      // 00000000B074: BF0A513C
	s_cselect_b32 s57, s57, 0                                  // 00000000B078: 85398039
	s_cselect_b32 s3, s3, 0                                    // 00000000B07C: 85038003
	v_mfma_f32_16x16x32_fp8_fp8 v[8:11], a[150:151], a[126:127], v[8:11]// 00000000B080: D3F30008 1C22FD96
	s_add_u32 s60, 0x100, s80                                  // 00000000B088: 803C50FF 00000100
	s_cmp_lt_u32 s60, s81                                      // 00000000B090: BF0A513C
	s_cselect_b32 s58, s58, 0                                  // 00000000B094: 853A803A
	v_fma_f32 v200, v12, v4, v200                              // 00000000B098: D1CB00C8 0722090C
	v_fma_f32 v201, v13, v4, v201                              // 00000000B0A0: D1CB00C9 0726090D
	v_fma_f32 v202, v14, v4, v202                              // 00000000B0A8: D1CB00CA 072A090E
	v_fma_f32 v203, v15, v4, v203                              // 00000000B0B0: D1CB00CB 072E090F
	v_mfma_f32_16x16x32_fp8_fp8 v[12:15], a[152:153], a[120:121], 0// 00000000B0B8: D3F3000C 1A02F198
	s_add_u32 s24, s58, s24                                    // 00000000B0C0: 8018183A
	s_addc_u32 s25, 0, s25                                     // 00000000B0C4: 82191980
	v_mfma_f32_16x16x32_fp8_fp8 v[12:15], a[154:155], a[122:123], v[12:15]// 00000000B0C8: D3F3000C 1C32F59A
	s_add_u32 s20, s57, s20                                    // 00000000B0D0: 80141439
	s_addc_u32 s21, 0, s21                                     // 00000000B0D4: 82151580
	s_add_u32 s28, s3, s28                                     // 00000000B0D8: 801C1C03
	s_addc_u32 s29, 0, s29                                     // 00000000B0DC: 821D1D80
	v_mfma_f32_16x16x32_fp8_fp8 v[12:15], a[156:157], a[124:125], v[12:15]// 00000000B0E0: D3F3000C 1C32F99C
	s_add_u32 s84, s83, s84                                    // 00000000B0E8: 80545453
	s_addc_u32 s85, 0, s85                                     // 00000000B0EC: 82555580
	v_mfma_f32_16x16x32_fp8_fp8 v[12:15], a[158:159], a[126:127], v[12:15]// 00000000B0F0: D3F3000C 1C32FD9E
	v_fma_f32 v172, v8, v6, v172                               // 00000000B0F8: D1CB00AC 06B20D08
	v_fma_f32 v173, v9, v6, v173                               // 00000000B100: D1CB00AD 06B60D09
	v_fma_f32 v174, v10, v6, v174                              // 00000000B108: D1CB00AE 06BA0D0A
	v_fma_f32 v175, v11, v6, v175                              // 00000000B110: D1CB00AF 06BE0D0B
	v_fma_f32 v204, v12, v6, v204                              // 00000000B118: D1CB00CC 07320D0C
	v_fma_f32 v205, v13, v6, v205                              // 00000000B120: D1CB00CD 07360D0D
	v_fma_f32 v206, v14, v6, v206                              // 00000000B128: D1CB00CE 073A0D0E
	v_fma_f32 v207, v15, v6, v207                              // 00000000B130: D1CB00CF 073E0D0F
	s_addk_i32 s80, 0x80                                       // 00000000B138: B7500080
	s_cmp_lt_i32 s80, s81                                      // 00000000B13C: BF045150
	s_cbranch_scc0 label_21D5                                  // 00000000B140: BF840001
	s_branch label_1C20                                        // 00000000B144: BF82FA4B

000000000000b148 <label_21D5>:
	s_cmp_eq_u32 s88, 0                                        // 00000000B148: BF068058
	s_cbranch_scc0 label_2C8A                                  // 00000000B14C: BF840AB3
	s_cmp_eq_u32 s89, 0                                        // 00000000B150: BF068059
	s_cbranch_scc1 label_245E                                  // 00000000B154: BF850285
	v_mov_b32_e32 v8, v1                                       // 00000000B158: 7E100301
	v_mov_b32_e32 v9, v1                                       // 00000000B15C: 7E120301
	s_mov_b32 s60, s6                                          // 00000000B160: BEBC0006
	s_mov_b32 s61, s6                                          // 00000000B164: BEBD0006
	v_pk_mul_f32 v[4:5], v[80:81], v[80:81]                    // 00000000B168: D3B14004 1802A150
	v_pk_mul_f32 v[6:7], v[82:83], v[82:83]                    // 00000000B170: D3B14006 1802A552
	v_pk_fma_f32 v[4:5], v[4:5], s[78:79], v[8:9]              // 00000000B178: D3B04004 1C209D04
	v_pk_fma_f32 v[6:7], v[6:7], s[78:79], v[8:9]              // 00000000B180: D3B04006 1C209D06
	v_pk_mul_f32 v[4:5], v[4:5], v[80:81]                      // 00000000B188: D3B14004 1802A104
	v_pk_mul_f32 v[6:7], v[6:7], v[82:83]                      // 00000000B190: D3B14006 1802A506
	v_pk_mul_f32 v[4:5], v[4:5], s[60:61]                      // 00000000B198: D3B14004 18007904
	v_pk_mul_f32 v[6:7], v[6:7], s[60:61]                      // 00000000B1A0: D3B14006 18007906
	v_exp_f32_e32 v4, v4                                       // 00000000B1A8: 7E084104
	v_exp_f32_e32 v5, v5                                       // 00000000B1AC: 7E0A4105
	v_exp_f32_e32 v6, v6                                       // 00000000B1B0: 7E0C4106
	v_exp_f32_e32 v7, v7                                       // 00000000B1B4: 7E0E4107
	v_add_f32_e64 v4, v4, 1.0                                  // 00000000B1B8: D1010004 0001E504
	v_add_f32_e64 v5, v5, 1.0                                  // 00000000B1C0: D1010005 0001E505
	v_add_f32_e64 v6, v6, 1.0                                  // 00000000B1C8: D1010006 0001E506
	v_add_f32_e64 v7, v7, 1.0                                  // 00000000B1D0: D1010007 0001E507
	v_rcp_f32_e32 v4, v4                                       // 00000000B1D8: 7E084504
	v_rcp_f32_e32 v5, v5                                       // 00000000B1DC: 7E0A4505
	v_rcp_f32_e32 v6, v6                                       // 00000000B1E0: 7E0C4506
	v_rcp_f32_e32 v7, v7                                       // 00000000B1E4: 7E0E4507
	v_mul_f32_e32 v80, v80, v4                                 // 00000000B1E8: 0AA00950
	v_mul_f32_e32 v81, v81, v5                                 // 00000000B1EC: 0AA20B51
	v_mul_f32_e32 v82, v82, v6                                 // 00000000B1F0: 0AA40D52
	v_mul_f32_e32 v83, v83, v7                                 // 00000000B1F4: 0AA60F53
	v_mul_f32_e32 v80, v80, v144                               // 00000000B1F8: 0AA12150
	v_mul_f32_e32 v81, v81, v145                               // 00000000B1FC: 0AA32351
	v_mul_f32_e32 v82, v82, v146                               // 00000000B200: 0AA52552
	v_mul_f32_e32 v83, v83, v147                               // 00000000B204: 0AA72753
	v_pk_mul_f32 v[4:5], v[84:85], v[84:85]                    // 00000000B208: D3B14004 1802A954
	v_pk_mul_f32 v[6:7], v[86:87], v[86:87]                    // 00000000B210: D3B14006 1802AD56
	v_pk_fma_f32 v[4:5], v[4:5], s[78:79], v[8:9]              // 00000000B218: D3B04004 1C209D04
	v_pk_fma_f32 v[6:7], v[6:7], s[78:79], v[8:9]              // 00000000B220: D3B04006 1C209D06
	v_pk_mul_f32 v[4:5], v[4:5], v[84:85]                      // 00000000B228: D3B14004 1802A904
	v_pk_mul_f32 v[6:7], v[6:7], v[86:87]                      // 00000000B230: D3B14006 1802AD06
	v_pk_mul_f32 v[4:5], v[4:5], s[60:61]                      // 00000000B238: D3B14004 18007904
	v_pk_mul_f32 v[6:7], v[6:7], s[60:61]                      // 00000000B240: D3B14006 18007906
	v_exp_f32_e32 v4, v4                                       // 00000000B248: 7E084104
	v_exp_f32_e32 v5, v5                                       // 00000000B24C: 7E0A4105
	v_exp_f32_e32 v6, v6                                       // 00000000B250: 7E0C4106
	v_exp_f32_e32 v7, v7                                       // 00000000B254: 7E0E4107
	v_add_f32_e64 v4, v4, 1.0                                  // 00000000B258: D1010004 0001E504
	v_add_f32_e64 v5, v5, 1.0                                  // 00000000B260: D1010005 0001E505
	v_add_f32_e64 v6, v6, 1.0                                  // 00000000B268: D1010006 0001E506
	v_add_f32_e64 v7, v7, 1.0                                  // 00000000B270: D1010007 0001E507
	v_rcp_f32_e32 v4, v4                                       // 00000000B278: 7E084504
	v_rcp_f32_e32 v5, v5                                       // 00000000B27C: 7E0A4505
	v_rcp_f32_e32 v6, v6                                       // 00000000B280: 7E0C4506
	v_rcp_f32_e32 v7, v7                                       // 00000000B284: 7E0E4507
	v_mul_f32_e32 v84, v84, v4                                 // 00000000B288: 0AA80954
	v_mul_f32_e32 v85, v85, v5                                 // 00000000B28C: 0AAA0B55
	v_mul_f32_e32 v86, v86, v6                                 // 00000000B290: 0AAC0D56
	v_mul_f32_e32 v87, v87, v7                                 // 00000000B294: 0AAE0F57
	v_mul_f32_e32 v84, v84, v148                               // 00000000B298: 0AA92954
	v_mul_f32_e32 v85, v85, v149                               // 00000000B29C: 0AAB2B55
	v_mul_f32_e32 v86, v86, v150                               // 00000000B2A0: 0AAD2D56
	v_mul_f32_e32 v87, v87, v151                               // 00000000B2A4: 0AAF2F57
	v_pk_mul_f32 v[4:5], v[88:89], v[88:89]                    // 00000000B2A8: D3B14004 1802B158
	v_pk_mul_f32 v[6:7], v[90:91], v[90:91]                    // 00000000B2B0: D3B14006 1802B55A
	v_pk_fma_f32 v[4:5], v[4:5], s[78:79], v[8:9]              // 00000000B2B8: D3B04004 1C209D04
	v_pk_fma_f32 v[6:7], v[6:7], s[78:79], v[8:9]              // 00000000B2C0: D3B04006 1C209D06
	v_pk_mul_f32 v[4:5], v[4:5], v[88:89]                      // 00000000B2C8: D3B14004 1802B104
	v_pk_mul_f32 v[6:7], v[6:7], v[90:91]                      // 00000000B2D0: D3B14006 1802B506
	v_pk_mul_f32 v[4:5], v[4:5], s[60:61]                      // 00000000B2D8: D3B14004 18007904
	v_pk_mul_f32 v[6:7], v[6:7], s[60:61]                      // 00000000B2E0: D3B14006 18007906
	v_exp_f32_e32 v4, v4                                       // 00000000B2E8: 7E084104
	v_exp_f32_e32 v5, v5                                       // 00000000B2EC: 7E0A4105
	v_exp_f32_e32 v6, v6                                       // 00000000B2F0: 7E0C4106
	v_exp_f32_e32 v7, v7                                       // 00000000B2F4: 7E0E4107
	v_add_f32_e64 v4, v4, 1.0                                  // 00000000B2F8: D1010004 0001E504
	v_add_f32_e64 v5, v5, 1.0                                  // 00000000B300: D1010005 0001E505
	v_add_f32_e64 v6, v6, 1.0                                  // 00000000B308: D1010006 0001E506
	v_add_f32_e64 v7, v7, 1.0                                  // 00000000B310: D1010007 0001E507
	v_rcp_f32_e32 v4, v4                                       // 00000000B318: 7E084504
	v_rcp_f32_e32 v5, v5                                       // 00000000B31C: 7E0A4505
	v_rcp_f32_e32 v6, v6                                       // 00000000B320: 7E0C4506
	v_rcp_f32_e32 v7, v7                                       // 00000000B324: 7E0E4507
	v_mul_f32_e32 v88, v88, v4                                 // 00000000B328: 0AB00958
	v_mul_f32_e32 v89, v89, v5                                 // 00000000B32C: 0AB20B59
	v_mul_f32_e32 v90, v90, v6                                 // 00000000B330: 0AB40D5A
	v_mul_f32_e32 v91, v91, v7                                 // 00000000B334: 0AB60F5B
	v_mul_f32_e32 v88, v88, v152                               // 00000000B338: 0AB13158
	v_mul_f32_e32 v89, v89, v153                               // 00000000B33C: 0AB33359
	v_mul_f32_e32 v90, v90, v154                               // 00000000B340: 0AB5355A
	v_mul_f32_e32 v91, v91, v155                               // 00000000B344: 0AB7375B
	v_pk_mul_f32 v[4:5], v[92:93], v[92:93]                    // 00000000B348: D3B14004 1802B95C
	v_pk_mul_f32 v[6:7], v[94:95], v[94:95]                    // 00000000B350: D3B14006 1802BD5E
	v_pk_fma_f32 v[4:5], v[4:5], s[78:79], v[8:9]              // 00000000B358: D3B04004 1C209D04
	v_pk_fma_f32 v[6:7], v[6:7], s[78:79], v[8:9]              // 00000000B360: D3B04006 1C209D06
	v_pk_mul_f32 v[4:5], v[4:5], v[92:93]                      // 00000000B368: D3B14004 1802B904
	v_pk_mul_f32 v[6:7], v[6:7], v[94:95]                      // 00000000B370: D3B14006 1802BD06
	v_pk_mul_f32 v[4:5], v[4:5], s[60:61]                      // 00000000B378: D3B14004 18007904
	v_pk_mul_f32 v[6:7], v[6:7], s[60:61]                      // 00000000B380: D3B14006 18007906
	v_exp_f32_e32 v4, v4                                       // 00000000B388: 7E084104
	v_exp_f32_e32 v5, v5                                       // 00000000B38C: 7E0A4105
	v_exp_f32_e32 v6, v6                                       // 00000000B390: 7E0C4106
	v_exp_f32_e32 v7, v7                                       // 00000000B394: 7E0E4107
	v_add_f32_e64 v4, v4, 1.0                                  // 00000000B398: D1010004 0001E504
	v_add_f32_e64 v5, v5, 1.0                                  // 00000000B3A0: D1010005 0001E505
	v_add_f32_e64 v6, v6, 1.0                                  // 00000000B3A8: D1010006 0001E506
	v_add_f32_e64 v7, v7, 1.0                                  // 00000000B3B0: D1010007 0001E507
	v_rcp_f32_e32 v4, v4                                       // 00000000B3B8: 7E084504
	v_rcp_f32_e32 v5, v5                                       // 00000000B3BC: 7E0A4505
	v_rcp_f32_e32 v6, v6                                       // 00000000B3C0: 7E0C4506
	v_rcp_f32_e32 v7, v7                                       // 00000000B3C4: 7E0E4507
	v_mul_f32_e32 v92, v92, v4                                 // 00000000B3C8: 0AB8095C
	v_mul_f32_e32 v93, v93, v5                                 // 00000000B3CC: 0ABA0B5D
	v_mul_f32_e32 v94, v94, v6                                 // 00000000B3D0: 0ABC0D5E
	v_mul_f32_e32 v95, v95, v7                                 // 00000000B3D4: 0ABE0F5F
	v_mul_f32_e32 v92, v92, v156                               // 00000000B3D8: 0AB9395C
	v_mul_f32_e32 v93, v93, v157                               // 00000000B3DC: 0ABB3B5D
	v_mul_f32_e32 v94, v94, v158                               // 00000000B3E0: 0ABD3D5E
	v_mul_f32_e32 v95, v95, v159                               // 00000000B3E4: 0ABF3F5F
	v_pk_mul_f32 v[4:5], v[96:97], v[96:97]                    // 00000000B3E8: D3B14004 1802C160
	v_pk_mul_f32 v[6:7], v[98:99], v[98:99]                    // 00000000B3F0: D3B14006 1802C562
	v_pk_fma_f32 v[4:5], v[4:5], s[78:79], v[8:9]              // 00000000B3F8: D3B04004 1C209D04
	v_pk_fma_f32 v[6:7], v[6:7], s[78:79], v[8:9]              // 00000000B400: D3B04006 1C209D06
	v_pk_mul_f32 v[4:5], v[4:5], v[96:97]                      // 00000000B408: D3B14004 1802C104
	v_pk_mul_f32 v[6:7], v[6:7], v[98:99]                      // 00000000B410: D3B14006 1802C506
	v_pk_mul_f32 v[4:5], v[4:5], s[60:61]                      // 00000000B418: D3B14004 18007904
	v_pk_mul_f32 v[6:7], v[6:7], s[60:61]                      // 00000000B420: D3B14006 18007906
	v_exp_f32_e32 v4, v4                                       // 00000000B428: 7E084104
	v_exp_f32_e32 v5, v5                                       // 00000000B42C: 7E0A4105
	v_exp_f32_e32 v6, v6                                       // 00000000B430: 7E0C4106
	v_exp_f32_e32 v7, v7                                       // 00000000B434: 7E0E4107
	v_add_f32_e64 v4, v4, 1.0                                  // 00000000B438: D1010004 0001E504
	v_add_f32_e64 v5, v5, 1.0                                  // 00000000B440: D1010005 0001E505
	v_add_f32_e64 v6, v6, 1.0                                  // 00000000B448: D1010006 0001E506
	v_add_f32_e64 v7, v7, 1.0                                  // 00000000B450: D1010007 0001E507
	v_rcp_f32_e32 v4, v4                                       // 00000000B458: 7E084504
	v_rcp_f32_e32 v5, v5                                       // 00000000B45C: 7E0A4505
	v_rcp_f32_e32 v6, v6                                       // 00000000B460: 7E0C4506
	v_rcp_f32_e32 v7, v7                                       // 00000000B464: 7E0E4507
	v_mul_f32_e32 v96, v96, v4                                 // 00000000B468: 0AC00960
	v_mul_f32_e32 v97, v97, v5                                 // 00000000B46C: 0AC20B61
	v_mul_f32_e32 v98, v98, v6                                 // 00000000B470: 0AC40D62
	v_mul_f32_e32 v99, v99, v7                                 // 00000000B474: 0AC60F63
	v_mul_f32_e32 v96, v96, v160                               // 00000000B478: 0AC14160
	v_mul_f32_e32 v97, v97, v161                               // 00000000B47C: 0AC34361
	v_mul_f32_e32 v98, v98, v162                               // 00000000B480: 0AC54562
	v_mul_f32_e32 v99, v99, v163                               // 00000000B484: 0AC74763
	v_pk_mul_f32 v[4:5], v[100:101], v[100:101]                // 00000000B488: D3B14004 1802C964
	v_pk_mul_f32 v[6:7], v[102:103], v[102:103]                // 00000000B490: D3B14006 1802CD66
	v_pk_fma_f32 v[4:5], v[4:5], s[78:79], v[8:9]              // 00000000B498: D3B04004 1C209D04
	v_pk_fma_f32 v[6:7], v[6:7], s[78:79], v[8:9]              // 00000000B4A0: D3B04006 1C209D06
	v_pk_mul_f32 v[4:5], v[4:5], v[100:101]                    // 00000000B4A8: D3B14004 1802C904
	v_pk_mul_f32 v[6:7], v[6:7], v[102:103]                    // 00000000B4B0: D3B14006 1802CD06
	v_pk_mul_f32 v[4:5], v[4:5], s[60:61]                      // 00000000B4B8: D3B14004 18007904
	v_pk_mul_f32 v[6:7], v[6:7], s[60:61]                      // 00000000B4C0: D3B14006 18007906
	v_exp_f32_e32 v4, v4                                       // 00000000B4C8: 7E084104
	v_exp_f32_e32 v5, v5                                       // 00000000B4CC: 7E0A4105
	v_exp_f32_e32 v6, v6                                       // 00000000B4D0: 7E0C4106
	v_exp_f32_e32 v7, v7                                       // 00000000B4D4: 7E0E4107
	v_add_f32_e64 v4, v4, 1.0                                  // 00000000B4D8: D1010004 0001E504
	v_add_f32_e64 v5, v5, 1.0                                  // 00000000B4E0: D1010005 0001E505
	v_add_f32_e64 v6, v6, 1.0                                  // 00000000B4E8: D1010006 0001E506
	v_add_f32_e64 v7, v7, 1.0                                  // 00000000B4F0: D1010007 0001E507
	v_rcp_f32_e32 v4, v4                                       // 00000000B4F8: 7E084504
	v_rcp_f32_e32 v5, v5                                       // 00000000B4FC: 7E0A4505
	v_rcp_f32_e32 v6, v6                                       // 00000000B500: 7E0C4506
	v_rcp_f32_e32 v7, v7                                       // 00000000B504: 7E0E4507
	v_mul_f32_e32 v100, v100, v4                               // 00000000B508: 0AC80964
	v_mul_f32_e32 v101, v101, v5                               // 00000000B50C: 0ACA0B65
	v_mul_f32_e32 v102, v102, v6                               // 00000000B510: 0ACC0D66
	v_mul_f32_e32 v103, v103, v7                               // 00000000B514: 0ACE0F67
	v_mul_f32_e32 v100, v100, v164                             // 00000000B518: 0AC94964
	v_mul_f32_e32 v101, v101, v165                             // 00000000B51C: 0ACB4B65
	v_mul_f32_e32 v102, v102, v166                             // 00000000B520: 0ACD4D66
	v_mul_f32_e32 v103, v103, v167                             // 00000000B524: 0ACF4F67
	v_pk_mul_f32 v[4:5], v[104:105], v[104:105]                // 00000000B528: D3B14004 1802D168
	v_pk_mul_f32 v[6:7], v[106:107], v[106:107]                // 00000000B530: D3B14006 1802D56A
	v_pk_fma_f32 v[4:5], v[4:5], s[78:79], v[8:9]              // 00000000B538: D3B04004 1C209D04
	v_pk_fma_f32 v[6:7], v[6:7], s[78:79], v[8:9]              // 00000000B540: D3B04006 1C209D06
	v_pk_mul_f32 v[4:5], v[4:5], v[104:105]                    // 00000000B548: D3B14004 1802D104
	v_pk_mul_f32 v[6:7], v[6:7], v[106:107]                    // 00000000B550: D3B14006 1802D506
	v_pk_mul_f32 v[4:5], v[4:5], s[60:61]                      // 00000000B558: D3B14004 18007904
	v_pk_mul_f32 v[6:7], v[6:7], s[60:61]                      // 00000000B560: D3B14006 18007906
	v_exp_f32_e32 v4, v4                                       // 00000000B568: 7E084104
	v_exp_f32_e32 v5, v5                                       // 00000000B56C: 7E0A4105
	v_exp_f32_e32 v6, v6                                       // 00000000B570: 7E0C4106
	v_exp_f32_e32 v7, v7                                       // 00000000B574: 7E0E4107
	v_add_f32_e64 v4, v4, 1.0                                  // 00000000B578: D1010004 0001E504
	v_add_f32_e64 v5, v5, 1.0                                  // 00000000B580: D1010005 0001E505
	v_add_f32_e64 v6, v6, 1.0                                  // 00000000B588: D1010006 0001E506
	v_add_f32_e64 v7, v7, 1.0                                  // 00000000B590: D1010007 0001E507
	v_rcp_f32_e32 v4, v4                                       // 00000000B598: 7E084504
	v_rcp_f32_e32 v5, v5                                       // 00000000B59C: 7E0A4505
	v_rcp_f32_e32 v6, v6                                       // 00000000B5A0: 7E0C4506
	v_rcp_f32_e32 v7, v7                                       // 00000000B5A4: 7E0E4507
	v_mul_f32_e32 v104, v104, v4                               // 00000000B5A8: 0AD00968
	v_mul_f32_e32 v105, v105, v5                               // 00000000B5AC: 0AD20B69
	v_mul_f32_e32 v106, v106, v6                               // 00000000B5B0: 0AD40D6A
	v_mul_f32_e32 v107, v107, v7                               // 00000000B5B4: 0AD60F6B
	v_mul_f32_e32 v104, v104, v168                             // 00000000B5B8: 0AD15168
	v_mul_f32_e32 v105, v105, v169                             // 00000000B5BC: 0AD35369
	v_mul_f32_e32 v106, v106, v170                             // 00000000B5C0: 0AD5556A
	v_mul_f32_e32 v107, v107, v171                             // 00000000B5C4: 0AD7576B
	v_pk_mul_f32 v[4:5], v[108:109], v[108:109]                // 00000000B5C8: D3B14004 1802D96C
	v_pk_mul_f32 v[6:7], v[110:111], v[110:111]                // 00000000B5D0: D3B14006 1802DD6E
	v_pk_fma_f32 v[4:5], v[4:5], s[78:79], v[8:9]              // 00000000B5D8: D3B04004 1C209D04
	v_pk_fma_f32 v[6:7], v[6:7], s[78:79], v[8:9]              // 00000000B5E0: D3B04006 1C209D06
	v_pk_mul_f32 v[4:5], v[4:5], v[108:109]                    // 00000000B5E8: D3B14004 1802D904
	v_pk_mul_f32 v[6:7], v[6:7], v[110:111]                    // 00000000B5F0: D3B14006 1802DD06
	v_pk_mul_f32 v[4:5], v[4:5], s[60:61]                      // 00000000B5F8: D3B14004 18007904
	v_pk_mul_f32 v[6:7], v[6:7], s[60:61]                      // 00000000B600: D3B14006 18007906
	v_exp_f32_e32 v4, v4                                       // 00000000B608: 7E084104
	v_exp_f32_e32 v5, v5                                       // 00000000B60C: 7E0A4105
	v_exp_f32_e32 v6, v6                                       // 00000000B610: 7E0C4106
	v_exp_f32_e32 v7, v7                                       // 00000000B614: 7E0E4107
	v_add_f32_e64 v4, v4, 1.0                                  // 00000000B618: D1010004 0001E504
	v_add_f32_e64 v5, v5, 1.0                                  // 00000000B620: D1010005 0001E505
	v_add_f32_e64 v6, v6, 1.0                                  // 00000000B628: D1010006 0001E506
	v_add_f32_e64 v7, v7, 1.0                                  // 00000000B630: D1010007 0001E507
	v_rcp_f32_e32 v4, v4                                       // 00000000B638: 7E084504
	v_rcp_f32_e32 v5, v5                                       // 00000000B63C: 7E0A4505
	v_rcp_f32_e32 v6, v6                                       // 00000000B640: 7E0C4506
	v_rcp_f32_e32 v7, v7                                       // 00000000B644: 7E0E4507
	v_mul_f32_e32 v108, v108, v4                               // 00000000B648: 0AD8096C
	v_mul_f32_e32 v109, v109, v5                               // 00000000B64C: 0ADA0B6D
	v_mul_f32_e32 v110, v110, v6                               // 00000000B650: 0ADC0D6E
	v_mul_f32_e32 v111, v111, v7                               // 00000000B654: 0ADE0F6F
	v_mul_f32_e32 v108, v108, v172                             // 00000000B658: 0AD9596C
	v_mul_f32_e32 v109, v109, v173                             // 00000000B65C: 0ADB5B6D
	v_mul_f32_e32 v110, v110, v174                             // 00000000B660: 0ADD5D6E
	v_mul_f32_e32 v111, v111, v175                             // 00000000B664: 0ADF5F6F
	v_pk_mul_f32 v[4:5], v[112:113], v[112:113]                // 00000000B668: D3B14004 1802E170
	v_pk_mul_f32 v[6:7], v[114:115], v[114:115]                // 00000000B670: D3B14006 1802E572
	v_pk_fma_f32 v[4:5], v[4:5], s[78:79], v[8:9]              // 00000000B678: D3B04004 1C209D04
	v_pk_fma_f32 v[6:7], v[6:7], s[78:79], v[8:9]              // 00000000B680: D3B04006 1C209D06
	v_pk_mul_f32 v[4:5], v[4:5], v[112:113]                    // 00000000B688: D3B14004 1802E104
	v_pk_mul_f32 v[6:7], v[6:7], v[114:115]                    // 00000000B690: D3B14006 1802E506
	v_pk_mul_f32 v[4:5], v[4:5], s[60:61]                      // 00000000B698: D3B14004 18007904
	v_pk_mul_f32 v[6:7], v[6:7], s[60:61]                      // 00000000B6A0: D3B14006 18007906
	v_exp_f32_e32 v4, v4                                       // 00000000B6A8: 7E084104
	v_exp_f32_e32 v5, v5                                       // 00000000B6AC: 7E0A4105
	v_exp_f32_e32 v6, v6                                       // 00000000B6B0: 7E0C4106
	v_exp_f32_e32 v7, v7                                       // 00000000B6B4: 7E0E4107
	v_add_f32_e64 v4, v4, 1.0                                  // 00000000B6B8: D1010004 0001E504
	v_add_f32_e64 v5, v5, 1.0                                  // 00000000B6C0: D1010005 0001E505
	v_add_f32_e64 v6, v6, 1.0                                  // 00000000B6C8: D1010006 0001E506
	v_add_f32_e64 v7, v7, 1.0                                  // 00000000B6D0: D1010007 0001E507
	v_rcp_f32_e32 v4, v4                                       // 00000000B6D8: 7E084504
	v_rcp_f32_e32 v5, v5                                       // 00000000B6DC: 7E0A4505
	v_rcp_f32_e32 v6, v6                                       // 00000000B6E0: 7E0C4506
	v_rcp_f32_e32 v7, v7                                       // 00000000B6E4: 7E0E4507
	v_mul_f32_e32 v112, v112, v4                               // 00000000B6E8: 0AE00970
	v_mul_f32_e32 v113, v113, v5                               // 00000000B6EC: 0AE20B71
	v_mul_f32_e32 v114, v114, v6                               // 00000000B6F0: 0AE40D72
	v_mul_f32_e32 v115, v115, v7                               // 00000000B6F4: 0AE60F73
	v_mul_f32_e32 v112, v112, v176                             // 00000000B6F8: 0AE16170
	v_mul_f32_e32 v113, v113, v177                             // 00000000B6FC: 0AE36371
	v_mul_f32_e32 v114, v114, v178                             // 00000000B700: 0AE56572
	v_mul_f32_e32 v115, v115, v179                             // 00000000B704: 0AE76773
	v_pk_mul_f32 v[4:5], v[116:117], v[116:117]                // 00000000B708: D3B14004 1802E974
	v_pk_mul_f32 v[6:7], v[118:119], v[118:119]                // 00000000B710: D3B14006 1802ED76
	v_pk_fma_f32 v[4:5], v[4:5], s[78:79], v[8:9]              // 00000000B718: D3B04004 1C209D04
	v_pk_fma_f32 v[6:7], v[6:7], s[78:79], v[8:9]              // 00000000B720: D3B04006 1C209D06
	v_pk_mul_f32 v[4:5], v[4:5], v[116:117]                    // 00000000B728: D3B14004 1802E904
	v_pk_mul_f32 v[6:7], v[6:7], v[118:119]                    // 00000000B730: D3B14006 1802ED06
	v_pk_mul_f32 v[4:5], v[4:5], s[60:61]                      // 00000000B738: D3B14004 18007904
	v_pk_mul_f32 v[6:7], v[6:7], s[60:61]                      // 00000000B740: D3B14006 18007906
	v_exp_f32_e32 v4, v4                                       // 00000000B748: 7E084104
	v_exp_f32_e32 v5, v5                                       // 00000000B74C: 7E0A4105
	v_exp_f32_e32 v6, v6                                       // 00000000B750: 7E0C4106
	v_exp_f32_e32 v7, v7                                       // 00000000B754: 7E0E4107
	v_add_f32_e64 v4, v4, 1.0                                  // 00000000B758: D1010004 0001E504
	v_add_f32_e64 v5, v5, 1.0                                  // 00000000B760: D1010005 0001E505
	v_add_f32_e64 v6, v6, 1.0                                  // 00000000B768: D1010006 0001E506
	v_add_f32_e64 v7, v7, 1.0                                  // 00000000B770: D1010007 0001E507
	v_rcp_f32_e32 v4, v4                                       // 00000000B778: 7E084504
	v_rcp_f32_e32 v5, v5                                       // 00000000B77C: 7E0A4505
	v_rcp_f32_e32 v6, v6                                       // 00000000B780: 7E0C4506
	v_rcp_f32_e32 v7, v7                                       // 00000000B784: 7E0E4507
	v_mul_f32_e32 v116, v116, v4                               // 00000000B788: 0AE80974
	v_mul_f32_e32 v117, v117, v5                               // 00000000B78C: 0AEA0B75
	v_mul_f32_e32 v118, v118, v6                               // 00000000B790: 0AEC0D76
	v_mul_f32_e32 v119, v119, v7                               // 00000000B794: 0AEE0F77
	v_mul_f32_e32 v116, v116, v180                             // 00000000B798: 0AE96974
	v_mul_f32_e32 v117, v117, v181                             // 00000000B79C: 0AEB6B75
	v_mul_f32_e32 v118, v118, v182                             // 00000000B7A0: 0AED6D76
	v_mul_f32_e32 v119, v119, v183                             // 00000000B7A4: 0AEF6F77
	v_pk_mul_f32 v[4:5], v[120:121], v[120:121]                // 00000000B7A8: D3B14004 1802F178
	v_pk_mul_f32 v[6:7], v[122:123], v[122:123]                // 00000000B7B0: D3B14006 1802F57A
	v_pk_fma_f32 v[4:5], v[4:5], s[78:79], v[8:9]              // 00000000B7B8: D3B04004 1C209D04
	v_pk_fma_f32 v[6:7], v[6:7], s[78:79], v[8:9]              // 00000000B7C0: D3B04006 1C209D06
	v_pk_mul_f32 v[4:5], v[4:5], v[120:121]                    // 00000000B7C8: D3B14004 1802F104
	v_pk_mul_f32 v[6:7], v[6:7], v[122:123]                    // 00000000B7D0: D3B14006 1802F506
	v_pk_mul_f32 v[4:5], v[4:5], s[60:61]                      // 00000000B7D8: D3B14004 18007904
	v_pk_mul_f32 v[6:7], v[6:7], s[60:61]                      // 00000000B7E0: D3B14006 18007906
	v_exp_f32_e32 v4, v4                                       // 00000000B7E8: 7E084104
	v_exp_f32_e32 v5, v5                                       // 00000000B7EC: 7E0A4105
	v_exp_f32_e32 v6, v6                                       // 00000000B7F0: 7E0C4106
	v_exp_f32_e32 v7, v7                                       // 00000000B7F4: 7E0E4107
	v_add_f32_e64 v4, v4, 1.0                                  // 00000000B7F8: D1010004 0001E504
	v_add_f32_e64 v5, v5, 1.0                                  // 00000000B800: D1010005 0001E505
	v_add_f32_e64 v6, v6, 1.0                                  // 00000000B808: D1010006 0001E506
	v_add_f32_e64 v7, v7, 1.0                                  // 00000000B810: D1010007 0001E507
	v_rcp_f32_e32 v4, v4                                       // 00000000B818: 7E084504
	v_rcp_f32_e32 v5, v5                                       // 00000000B81C: 7E0A4505
	v_rcp_f32_e32 v6, v6                                       // 00000000B820: 7E0C4506
	v_rcp_f32_e32 v7, v7                                       // 00000000B824: 7E0E4507
	v_mul_f32_e32 v120, v120, v4                               // 00000000B828: 0AF00978
	v_mul_f32_e32 v121, v121, v5                               // 00000000B82C: 0AF20B79
	v_mul_f32_e32 v122, v122, v6                               // 00000000B830: 0AF40D7A
	v_mul_f32_e32 v123, v123, v7                               // 00000000B834: 0AF60F7B
	v_mul_f32_e32 v120, v120, v184                             // 00000000B838: 0AF17178
	v_mul_f32_e32 v121, v121, v185                             // 00000000B83C: 0AF37379
	v_mul_f32_e32 v122, v122, v186                             // 00000000B840: 0AF5757A
	v_mul_f32_e32 v123, v123, v187                             // 00000000B844: 0AF7777B
	v_pk_mul_f32 v[4:5], v[124:125], v[124:125]                // 00000000B848: D3B14004 1802F97C
	v_pk_mul_f32 v[6:7], v[126:127], v[126:127]                // 00000000B850: D3B14006 1802FD7E
	v_pk_fma_f32 v[4:5], v[4:5], s[78:79], v[8:9]              // 00000000B858: D3B04004 1C209D04
	v_pk_fma_f32 v[6:7], v[6:7], s[78:79], v[8:9]              // 00000000B860: D3B04006 1C209D06
	v_pk_mul_f32 v[4:5], v[4:5], v[124:125]                    // 00000000B868: D3B14004 1802F904
	v_pk_mul_f32 v[6:7], v[6:7], v[126:127]                    // 00000000B870: D3B14006 1802FD06
	v_pk_mul_f32 v[4:5], v[4:5], s[60:61]                      // 00000000B878: D3B14004 18007904
	v_pk_mul_f32 v[6:7], v[6:7], s[60:61]                      // 00000000B880: D3B14006 18007906
	v_exp_f32_e32 v4, v4                                       // 00000000B888: 7E084104
	v_exp_f32_e32 v5, v5                                       // 00000000B88C: 7E0A4105
	v_exp_f32_e32 v6, v6                                       // 00000000B890: 7E0C4106
	v_exp_f32_e32 v7, v7                                       // 00000000B894: 7E0E4107
	v_add_f32_e64 v4, v4, 1.0                                  // 00000000B898: D1010004 0001E504
	v_add_f32_e64 v5, v5, 1.0                                  // 00000000B8A0: D1010005 0001E505
	v_add_f32_e64 v6, v6, 1.0                                  // 00000000B8A8: D1010006 0001E506
	v_add_f32_e64 v7, v7, 1.0                                  // 00000000B8B0: D1010007 0001E507
	v_rcp_f32_e32 v4, v4                                       // 00000000B8B8: 7E084504
	v_rcp_f32_e32 v5, v5                                       // 00000000B8BC: 7E0A4505
	v_rcp_f32_e32 v6, v6                                       // 00000000B8C0: 7E0C4506
	v_rcp_f32_e32 v7, v7                                       // 00000000B8C4: 7E0E4507
	v_mul_f32_e32 v124, v124, v4                               // 00000000B8C8: 0AF8097C
	v_mul_f32_e32 v125, v125, v5                               // 00000000B8CC: 0AFA0B7D
	v_mul_f32_e32 v126, v126, v6                               // 00000000B8D0: 0AFC0D7E
	v_mul_f32_e32 v127, v127, v7                               // 00000000B8D4: 0AFE0F7F
	v_mul_f32_e32 v124, v124, v188                             // 00000000B8D8: 0AF9797C
	v_mul_f32_e32 v125, v125, v189                             // 00000000B8DC: 0AFB7B7D
	v_mul_f32_e32 v126, v126, v190                             // 00000000B8E0: 0AFD7D7E
	v_mul_f32_e32 v127, v127, v191                             // 00000000B8E4: 0AFF7F7F
	v_pk_mul_f32 v[4:5], v[128:129], v[128:129]                // 00000000B8E8: D3B14004 18030180
	v_pk_mul_f32 v[6:7], v[130:131], v[130:131]                // 00000000B8F0: D3B14006 18030582
	v_pk_fma_f32 v[4:5], v[4:5], s[78:79], v[8:9]              // 00000000B8F8: D3B04004 1C209D04
	v_pk_fma_f32 v[6:7], v[6:7], s[78:79], v[8:9]              // 00000000B900: D3B04006 1C209D06
	v_pk_mul_f32 v[4:5], v[4:5], v[128:129]                    // 00000000B908: D3B14004 18030104
	v_pk_mul_f32 v[6:7], v[6:7], v[130:131]                    // 00000000B910: D3B14006 18030506
	v_pk_mul_f32 v[4:5], v[4:5], s[60:61]                      // 00000000B918: D3B14004 18007904
	v_pk_mul_f32 v[6:7], v[6:7], s[60:61]                      // 00000000B920: D3B14006 18007906
	v_exp_f32_e32 v4, v4                                       // 00000000B928: 7E084104
	v_exp_f32_e32 v5, v5                                       // 00000000B92C: 7E0A4105
	v_exp_f32_e32 v6, v6                                       // 00000000B930: 7E0C4106
	v_exp_f32_e32 v7, v7                                       // 00000000B934: 7E0E4107
	v_add_f32_e64 v4, v4, 1.0                                  // 00000000B938: D1010004 0001E504
	v_add_f32_e64 v5, v5, 1.0                                  // 00000000B940: D1010005 0001E505
	v_add_f32_e64 v6, v6, 1.0                                  // 00000000B948: D1010006 0001E506
	v_add_f32_e64 v7, v7, 1.0                                  // 00000000B950: D1010007 0001E507
	v_rcp_f32_e32 v4, v4                                       // 00000000B958: 7E084504
	v_rcp_f32_e32 v5, v5                                       // 00000000B95C: 7E0A4505
	v_rcp_f32_e32 v6, v6                                       // 00000000B960: 7E0C4506
	v_rcp_f32_e32 v7, v7                                       // 00000000B964: 7E0E4507
	v_mul_f32_e32 v128, v128, v4                               // 00000000B968: 0B000980
	v_mul_f32_e32 v129, v129, v5                               // 00000000B96C: 0B020B81
	v_mul_f32_e32 v130, v130, v6                               // 00000000B970: 0B040D82
	v_mul_f32_e32 v131, v131, v7                               // 00000000B974: 0B060F83
	v_mul_f32_e32 v128, v128, v192                             // 00000000B978: 0B018180
	v_mul_f32_e32 v129, v129, v193                             // 00000000B97C: 0B038381
	v_mul_f32_e32 v130, v130, v194                             // 00000000B980: 0B058582
	v_mul_f32_e32 v131, v131, v195                             // 00000000B984: 0B078783
	v_pk_mul_f32 v[4:5], v[132:133], v[132:133]                // 00000000B988: D3B14004 18030984
	v_pk_mul_f32 v[6:7], v[134:135], v[134:135]                // 00000000B990: D3B14006 18030D86
	v_pk_fma_f32 v[4:5], v[4:5], s[78:79], v[8:9]              // 00000000B998: D3B04004 1C209D04
	v_pk_fma_f32 v[6:7], v[6:7], s[78:79], v[8:9]              // 00000000B9A0: D3B04006 1C209D06
	v_pk_mul_f32 v[4:5], v[4:5], v[132:133]                    // 00000000B9A8: D3B14004 18030904
	v_pk_mul_f32 v[6:7], v[6:7], v[134:135]                    // 00000000B9B0: D3B14006 18030D06
	v_pk_mul_f32 v[4:5], v[4:5], s[60:61]                      // 00000000B9B8: D3B14004 18007904
	v_pk_mul_f32 v[6:7], v[6:7], s[60:61]                      // 00000000B9C0: D3B14006 18007906
	v_exp_f32_e32 v4, v4                                       // 00000000B9C8: 7E084104
	v_exp_f32_e32 v5, v5                                       // 00000000B9CC: 7E0A4105
	v_exp_f32_e32 v6, v6                                       // 00000000B9D0: 7E0C4106
	v_exp_f32_e32 v7, v7                                       // 00000000B9D4: 7E0E4107
	v_add_f32_e64 v4, v4, 1.0                                  // 00000000B9D8: D1010004 0001E504
	v_add_f32_e64 v5, v5, 1.0                                  // 00000000B9E0: D1010005 0001E505
	v_add_f32_e64 v6, v6, 1.0                                  // 00000000B9E8: D1010006 0001E506
	v_add_f32_e64 v7, v7, 1.0                                  // 00000000B9F0: D1010007 0001E507
	v_rcp_f32_e32 v4, v4                                       // 00000000B9F8: 7E084504
	v_rcp_f32_e32 v5, v5                                       // 00000000B9FC: 7E0A4505
	v_rcp_f32_e32 v6, v6                                       // 00000000BA00: 7E0C4506
	v_rcp_f32_e32 v7, v7                                       // 00000000BA04: 7E0E4507
	v_mul_f32_e32 v132, v132, v4                               // 00000000BA08: 0B080984
	v_mul_f32_e32 v133, v133, v5                               // 00000000BA0C: 0B0A0B85
	v_mul_f32_e32 v134, v134, v6                               // 00000000BA10: 0B0C0D86
	v_mul_f32_e32 v135, v135, v7                               // 00000000BA14: 0B0E0F87
	v_mul_f32_e32 v132, v132, v196                             // 00000000BA18: 0B098984
	v_mul_f32_e32 v133, v133, v197                             // 00000000BA1C: 0B0B8B85
	v_mul_f32_e32 v134, v134, v198                             // 00000000BA20: 0B0D8D86
	v_mul_f32_e32 v135, v135, v199                             // 00000000BA24: 0B0F8F87
	v_pk_mul_f32 v[4:5], v[136:137], v[136:137]                // 00000000BA28: D3B14004 18031188
	v_pk_mul_f32 v[6:7], v[138:139], v[138:139]                // 00000000BA30: D3B14006 1803158A
	v_pk_fma_f32 v[4:5], v[4:5], s[78:79], v[8:9]              // 00000000BA38: D3B04004 1C209D04
	v_pk_fma_f32 v[6:7], v[6:7], s[78:79], v[8:9]              // 00000000BA40: D3B04006 1C209D06
	v_pk_mul_f32 v[4:5], v[4:5], v[136:137]                    // 00000000BA48: D3B14004 18031104
	v_pk_mul_f32 v[6:7], v[6:7], v[138:139]                    // 00000000BA50: D3B14006 18031506
	v_pk_mul_f32 v[4:5], v[4:5], s[60:61]                      // 00000000BA58: D3B14004 18007904
	v_pk_mul_f32 v[6:7], v[6:7], s[60:61]                      // 00000000BA60: D3B14006 18007906
	v_exp_f32_e32 v4, v4                                       // 00000000BA68: 7E084104
	v_exp_f32_e32 v5, v5                                       // 00000000BA6C: 7E0A4105
	v_exp_f32_e32 v6, v6                                       // 00000000BA70: 7E0C4106
	v_exp_f32_e32 v7, v7                                       // 00000000BA74: 7E0E4107
	v_add_f32_e64 v4, v4, 1.0                                  // 00000000BA78: D1010004 0001E504
	v_add_f32_e64 v5, v5, 1.0                                  // 00000000BA80: D1010005 0001E505
	v_add_f32_e64 v6, v6, 1.0                                  // 00000000BA88: D1010006 0001E506
	v_add_f32_e64 v7, v7, 1.0                                  // 00000000BA90: D1010007 0001E507
	v_rcp_f32_e32 v4, v4                                       // 00000000BA98: 7E084504
	v_rcp_f32_e32 v5, v5                                       // 00000000BA9C: 7E0A4505
	v_rcp_f32_e32 v6, v6                                       // 00000000BAA0: 7E0C4506
	v_rcp_f32_e32 v7, v7                                       // 00000000BAA4: 7E0E4507
	v_mul_f32_e32 v136, v136, v4                               // 00000000BAA8: 0B100988
	v_mul_f32_e32 v137, v137, v5                               // 00000000BAAC: 0B120B89
	v_mul_f32_e32 v138, v138, v6                               // 00000000BAB0: 0B140D8A
	v_mul_f32_e32 v139, v139, v7                               // 00000000BAB4: 0B160F8B
	v_mul_f32_e32 v136, v136, v200                             // 00000000BAB8: 0B119188
	v_mul_f32_e32 v137, v137, v201                             // 00000000BABC: 0B139389
	v_mul_f32_e32 v138, v138, v202                             // 00000000BAC0: 0B15958A
	v_mul_f32_e32 v139, v139, v203                             // 00000000BAC4: 0B17978B
	v_pk_mul_f32 v[4:5], v[140:141], v[140:141]                // 00000000BAC8: D3B14004 1803198C
	v_pk_mul_f32 v[6:7], v[142:143], v[142:143]                // 00000000BAD0: D3B14006 18031D8E
	v_pk_fma_f32 v[4:5], v[4:5], s[78:79], v[8:9]              // 00000000BAD8: D3B04004 1C209D04
	v_pk_fma_f32 v[6:7], v[6:7], s[78:79], v[8:9]              // 00000000BAE0: D3B04006 1C209D06
	v_pk_mul_f32 v[4:5], v[4:5], v[140:141]                    // 00000000BAE8: D3B14004 18031904
	v_pk_mul_f32 v[6:7], v[6:7], v[142:143]                    // 00000000BAF0: D3B14006 18031D06
	v_pk_mul_f32 v[4:5], v[4:5], s[60:61]                      // 00000000BAF8: D3B14004 18007904
	v_pk_mul_f32 v[6:7], v[6:7], s[60:61]                      // 00000000BB00: D3B14006 18007906
	v_exp_f32_e32 v4, v4                                       // 00000000BB08: 7E084104
	v_exp_f32_e32 v5, v5                                       // 00000000BB0C: 7E0A4105
	v_exp_f32_e32 v6, v6                                       // 00000000BB10: 7E0C4106
	v_exp_f32_e32 v7, v7                                       // 00000000BB14: 7E0E4107
	v_add_f32_e64 v4, v4, 1.0                                  // 00000000BB18: D1010004 0001E504
	v_add_f32_e64 v5, v5, 1.0                                  // 00000000BB20: D1010005 0001E505
	v_add_f32_e64 v6, v6, 1.0                                  // 00000000BB28: D1010006 0001E506
	v_add_f32_e64 v7, v7, 1.0                                  // 00000000BB30: D1010007 0001E507
	v_rcp_f32_e32 v4, v4                                       // 00000000BB38: 7E084504
	v_rcp_f32_e32 v5, v5                                       // 00000000BB3C: 7E0A4505
	v_rcp_f32_e32 v6, v6                                       // 00000000BB40: 7E0C4506
	v_rcp_f32_e32 v7, v7                                       // 00000000BB44: 7E0E4507
	v_mul_f32_e32 v140, v140, v4                               // 00000000BB48: 0B18098C
	v_mul_f32_e32 v141, v141, v5                               // 00000000BB4C: 0B1A0B8D
	v_mul_f32_e32 v142, v142, v6                               // 00000000BB50: 0B1C0D8E
	v_mul_f32_e32 v143, v143, v7                               // 00000000BB54: 0B1E0F8F
	v_mul_f32_e32 v140, v140, v204                             // 00000000BB58: 0B19998C
	v_mul_f32_e32 v141, v141, v205                             // 00000000BB5C: 0B1B9B8D
	v_mul_f32_e32 v142, v142, v206                             // 00000000BB60: 0B1D9D8E
	v_mul_f32_e32 v143, v143, v207                             // 00000000BB64: 0B1F9F8F
	s_branch label_265E                                        // 00000000BB68: BF820200

000000000000bb6c <label_245E>:
	v_mul_f32_e64 v4, -v80, s6                                 // 00000000BB6C: D1050004 20000D50
	v_mul_f32_e64 v5, -v81, s6                                 // 00000000BB74: D1050005 20000D51
	v_mul_f32_e64 v6, -v82, s6                                 // 00000000BB7C: D1050006 20000D52
	v_mul_f32_e64 v7, -v83, s6                                 // 00000000BB84: D1050007 20000D53
	v_exp_f32_e32 v4, v4                                       // 00000000BB8C: 7E084104
	v_exp_f32_e32 v5, v5                                       // 00000000BB90: 7E0A4105
	v_exp_f32_e32 v6, v6                                       // 00000000BB94: 7E0C4106
	v_exp_f32_e32 v7, v7                                       // 00000000BB98: 7E0E4107
	v_add_f32_e64 v4, v4, 1.0                                  // 00000000BB9C: D1010004 0001E504
	v_add_f32_e64 v5, v5, 1.0                                  // 00000000BBA4: D1010005 0001E505
	v_add_f32_e64 v6, v6, 1.0                                  // 00000000BBAC: D1010006 0001E506
	v_add_f32_e64 v7, v7, 1.0                                  // 00000000BBB4: D1010007 0001E507
	v_rcp_f32_e32 v4, v4                                       // 00000000BBBC: 7E084504
	v_rcp_f32_e32 v5, v5                                       // 00000000BBC0: 7E0A4505
	v_rcp_f32_e32 v6, v6                                       // 00000000BBC4: 7E0C4506
	v_rcp_f32_e32 v7, v7                                       // 00000000BBC8: 7E0E4507
	v_mul_f32_e32 v80, v80, v4                                 // 00000000BBCC: 0AA00950
	v_mul_f32_e32 v81, v81, v5                                 // 00000000BBD0: 0AA20B51
	v_mul_f32_e32 v82, v82, v6                                 // 00000000BBD4: 0AA40D52
	v_mul_f32_e32 v83, v83, v7                                 // 00000000BBD8: 0AA60F53
	v_mul_f32_e32 v80, v80, v144                               // 00000000BBDC: 0AA12150
	v_mul_f32_e32 v81, v81, v145                               // 00000000BBE0: 0AA32351
	v_mul_f32_e32 v82, v82, v146                               // 00000000BBE4: 0AA52552
	v_mul_f32_e32 v83, v83, v147                               // 00000000BBE8: 0AA72753
	v_mul_f32_e64 v4, -v84, s6                                 // 00000000BBEC: D1050004 20000D54
	v_mul_f32_e64 v5, -v85, s6                                 // 00000000BBF4: D1050005 20000D55
	v_mul_f32_e64 v6, -v86, s6                                 // 00000000BBFC: D1050006 20000D56
	v_mul_f32_e64 v7, -v87, s6                                 // 00000000BC04: D1050007 20000D57
	v_exp_f32_e32 v4, v4                                       // 00000000BC0C: 7E084104
	v_exp_f32_e32 v5, v5                                       // 00000000BC10: 7E0A4105
	v_exp_f32_e32 v6, v6                                       // 00000000BC14: 7E0C4106
	v_exp_f32_e32 v7, v7                                       // 00000000BC18: 7E0E4107
	v_add_f32_e64 v4, v4, 1.0                                  // 00000000BC1C: D1010004 0001E504
	v_add_f32_e64 v5, v5, 1.0                                  // 00000000BC24: D1010005 0001E505
	v_add_f32_e64 v6, v6, 1.0                                  // 00000000BC2C: D1010006 0001E506
	v_add_f32_e64 v7, v7, 1.0                                  // 00000000BC34: D1010007 0001E507
	v_rcp_f32_e32 v4, v4                                       // 00000000BC3C: 7E084504
	v_rcp_f32_e32 v5, v5                                       // 00000000BC40: 7E0A4505
	v_rcp_f32_e32 v6, v6                                       // 00000000BC44: 7E0C4506
	v_rcp_f32_e32 v7, v7                                       // 00000000BC48: 7E0E4507
	v_mul_f32_e32 v84, v84, v4                                 // 00000000BC4C: 0AA80954
	v_mul_f32_e32 v85, v85, v5                                 // 00000000BC50: 0AAA0B55
	v_mul_f32_e32 v86, v86, v6                                 // 00000000BC54: 0AAC0D56
	v_mul_f32_e32 v87, v87, v7                                 // 00000000BC58: 0AAE0F57
	v_mul_f32_e32 v84, v84, v148                               // 00000000BC5C: 0AA92954
	v_mul_f32_e32 v85, v85, v149                               // 00000000BC60: 0AAB2B55
	v_mul_f32_e32 v86, v86, v150                               // 00000000BC64: 0AAD2D56
	v_mul_f32_e32 v87, v87, v151                               // 00000000BC68: 0AAF2F57
	v_mul_f32_e64 v4, -v88, s6                                 // 00000000BC6C: D1050004 20000D58
	v_mul_f32_e64 v5, -v89, s6                                 // 00000000BC74: D1050005 20000D59
	v_mul_f32_e64 v6, -v90, s6                                 // 00000000BC7C: D1050006 20000D5A
	v_mul_f32_e64 v7, -v91, s6                                 // 00000000BC84: D1050007 20000D5B
	v_exp_f32_e32 v4, v4                                       // 00000000BC8C: 7E084104
	v_exp_f32_e32 v5, v5                                       // 00000000BC90: 7E0A4105
	v_exp_f32_e32 v6, v6                                       // 00000000BC94: 7E0C4106
	v_exp_f32_e32 v7, v7                                       // 00000000BC98: 7E0E4107
	v_add_f32_e64 v4, v4, 1.0                                  // 00000000BC9C: D1010004 0001E504
	v_add_f32_e64 v5, v5, 1.0                                  // 00000000BCA4: D1010005 0001E505
	v_add_f32_e64 v6, v6, 1.0                                  // 00000000BCAC: D1010006 0001E506
	v_add_f32_e64 v7, v7, 1.0                                  // 00000000BCB4: D1010007 0001E507
	v_rcp_f32_e32 v4, v4                                       // 00000000BCBC: 7E084504
	v_rcp_f32_e32 v5, v5                                       // 00000000BCC0: 7E0A4505
	v_rcp_f32_e32 v6, v6                                       // 00000000BCC4: 7E0C4506
	v_rcp_f32_e32 v7, v7                                       // 00000000BCC8: 7E0E4507
	v_mul_f32_e32 v88, v88, v4                                 // 00000000BCCC: 0AB00958
	v_mul_f32_e32 v89, v89, v5                                 // 00000000BCD0: 0AB20B59
	v_mul_f32_e32 v90, v90, v6                                 // 00000000BCD4: 0AB40D5A
	v_mul_f32_e32 v91, v91, v7                                 // 00000000BCD8: 0AB60F5B
	v_mul_f32_e32 v88, v88, v152                               // 00000000BCDC: 0AB13158
	v_mul_f32_e32 v89, v89, v153                               // 00000000BCE0: 0AB33359
	v_mul_f32_e32 v90, v90, v154                               // 00000000BCE4: 0AB5355A
	v_mul_f32_e32 v91, v91, v155                               // 00000000BCE8: 0AB7375B
	v_mul_f32_e64 v4, -v92, s6                                 // 00000000BCEC: D1050004 20000D5C
	v_mul_f32_e64 v5, -v93, s6                                 // 00000000BCF4: D1050005 20000D5D
	v_mul_f32_e64 v6, -v94, s6                                 // 00000000BCFC: D1050006 20000D5E
	v_mul_f32_e64 v7, -v95, s6                                 // 00000000BD04: D1050007 20000D5F
	v_exp_f32_e32 v4, v4                                       // 00000000BD0C: 7E084104
	v_exp_f32_e32 v5, v5                                       // 00000000BD10: 7E0A4105
	v_exp_f32_e32 v6, v6                                       // 00000000BD14: 7E0C4106
	v_exp_f32_e32 v7, v7                                       // 00000000BD18: 7E0E4107
	v_add_f32_e64 v4, v4, 1.0                                  // 00000000BD1C: D1010004 0001E504
	v_add_f32_e64 v5, v5, 1.0                                  // 00000000BD24: D1010005 0001E505
	v_add_f32_e64 v6, v6, 1.0                                  // 00000000BD2C: D1010006 0001E506
	v_add_f32_e64 v7, v7, 1.0                                  // 00000000BD34: D1010007 0001E507
	v_rcp_f32_e32 v4, v4                                       // 00000000BD3C: 7E084504
	v_rcp_f32_e32 v5, v5                                       // 00000000BD40: 7E0A4505
	v_rcp_f32_e32 v6, v6                                       // 00000000BD44: 7E0C4506
	v_rcp_f32_e32 v7, v7                                       // 00000000BD48: 7E0E4507
	v_mul_f32_e32 v92, v92, v4                                 // 00000000BD4C: 0AB8095C
	v_mul_f32_e32 v93, v93, v5                                 // 00000000BD50: 0ABA0B5D
	v_mul_f32_e32 v94, v94, v6                                 // 00000000BD54: 0ABC0D5E
	v_mul_f32_e32 v95, v95, v7                                 // 00000000BD58: 0ABE0F5F
	v_mul_f32_e32 v92, v92, v156                               // 00000000BD5C: 0AB9395C
	v_mul_f32_e32 v93, v93, v157                               // 00000000BD60: 0ABB3B5D
	v_mul_f32_e32 v94, v94, v158                               // 00000000BD64: 0ABD3D5E
	v_mul_f32_e32 v95, v95, v159                               // 00000000BD68: 0ABF3F5F
	v_mul_f32_e64 v4, -v96, s6                                 // 00000000BD6C: D1050004 20000D60
	v_mul_f32_e64 v5, -v97, s6                                 // 00000000BD74: D1050005 20000D61
	v_mul_f32_e64 v6, -v98, s6                                 // 00000000BD7C: D1050006 20000D62
	v_mul_f32_e64 v7, -v99, s6                                 // 00000000BD84: D1050007 20000D63
	v_exp_f32_e32 v4, v4                                       // 00000000BD8C: 7E084104
	v_exp_f32_e32 v5, v5                                       // 00000000BD90: 7E0A4105
	v_exp_f32_e32 v6, v6                                       // 00000000BD94: 7E0C4106
	v_exp_f32_e32 v7, v7                                       // 00000000BD98: 7E0E4107
	v_add_f32_e64 v4, v4, 1.0                                  // 00000000BD9C: D1010004 0001E504
	v_add_f32_e64 v5, v5, 1.0                                  // 00000000BDA4: D1010005 0001E505
	v_add_f32_e64 v6, v6, 1.0                                  // 00000000BDAC: D1010006 0001E506
	v_add_f32_e64 v7, v7, 1.0                                  // 00000000BDB4: D1010007 0001E507
	v_rcp_f32_e32 v4, v4                                       // 00000000BDBC: 7E084504
	v_rcp_f32_e32 v5, v5                                       // 00000000BDC0: 7E0A4505
	v_rcp_f32_e32 v6, v6                                       // 00000000BDC4: 7E0C4506
	v_rcp_f32_e32 v7, v7                                       // 00000000BDC8: 7E0E4507
	v_mul_f32_e32 v96, v96, v4                                 // 00000000BDCC: 0AC00960
	v_mul_f32_e32 v97, v97, v5                                 // 00000000BDD0: 0AC20B61
	v_mul_f32_e32 v98, v98, v6                                 // 00000000BDD4: 0AC40D62
	v_mul_f32_e32 v99, v99, v7                                 // 00000000BDD8: 0AC60F63
	v_mul_f32_e32 v96, v96, v160                               // 00000000BDDC: 0AC14160
	v_mul_f32_e32 v97, v97, v161                               // 00000000BDE0: 0AC34361
	v_mul_f32_e32 v98, v98, v162                               // 00000000BDE4: 0AC54562
	v_mul_f32_e32 v99, v99, v163                               // 00000000BDE8: 0AC74763
	v_mul_f32_e64 v4, -v100, s6                                // 00000000BDEC: D1050004 20000D64
	v_mul_f32_e64 v5, -v101, s6                                // 00000000BDF4: D1050005 20000D65
	v_mul_f32_e64 v6, -v102, s6                                // 00000000BDFC: D1050006 20000D66
	v_mul_f32_e64 v7, -v103, s6                                // 00000000BE04: D1050007 20000D67
	v_exp_f32_e32 v4, v4                                       // 00000000BE0C: 7E084104
	v_exp_f32_e32 v5, v5                                       // 00000000BE10: 7E0A4105
	v_exp_f32_e32 v6, v6                                       // 00000000BE14: 7E0C4106
	v_exp_f32_e32 v7, v7                                       // 00000000BE18: 7E0E4107
	v_add_f32_e64 v4, v4, 1.0                                  // 00000000BE1C: D1010004 0001E504
	v_add_f32_e64 v5, v5, 1.0                                  // 00000000BE24: D1010005 0001E505
	v_add_f32_e64 v6, v6, 1.0                                  // 00000000BE2C: D1010006 0001E506
	v_add_f32_e64 v7, v7, 1.0                                  // 00000000BE34: D1010007 0001E507
	v_rcp_f32_e32 v4, v4                                       // 00000000BE3C: 7E084504
	v_rcp_f32_e32 v5, v5                                       // 00000000BE40: 7E0A4505
	v_rcp_f32_e32 v6, v6                                       // 00000000BE44: 7E0C4506
	v_rcp_f32_e32 v7, v7                                       // 00000000BE48: 7E0E4507
	v_mul_f32_e32 v100, v100, v4                               // 00000000BE4C: 0AC80964
	v_mul_f32_e32 v101, v101, v5                               // 00000000BE50: 0ACA0B65
	v_mul_f32_e32 v102, v102, v6                               // 00000000BE54: 0ACC0D66
	v_mul_f32_e32 v103, v103, v7                               // 00000000BE58: 0ACE0F67
	v_mul_f32_e32 v100, v100, v164                             // 00000000BE5C: 0AC94964
	v_mul_f32_e32 v101, v101, v165                             // 00000000BE60: 0ACB4B65
	v_mul_f32_e32 v102, v102, v166                             // 00000000BE64: 0ACD4D66
	v_mul_f32_e32 v103, v103, v167                             // 00000000BE68: 0ACF4F67
	v_mul_f32_e64 v4, -v104, s6                                // 00000000BE6C: D1050004 20000D68
	v_mul_f32_e64 v5, -v105, s6                                // 00000000BE74: D1050005 20000D69
	v_mul_f32_e64 v6, -v106, s6                                // 00000000BE7C: D1050006 20000D6A
	v_mul_f32_e64 v7, -v107, s6                                // 00000000BE84: D1050007 20000D6B
	v_exp_f32_e32 v4, v4                                       // 00000000BE8C: 7E084104
	v_exp_f32_e32 v5, v5                                       // 00000000BE90: 7E0A4105
	v_exp_f32_e32 v6, v6                                       // 00000000BE94: 7E0C4106
	v_exp_f32_e32 v7, v7                                       // 00000000BE98: 7E0E4107
	v_add_f32_e64 v4, v4, 1.0                                  // 00000000BE9C: D1010004 0001E504
	v_add_f32_e64 v5, v5, 1.0                                  // 00000000BEA4: D1010005 0001E505
	v_add_f32_e64 v6, v6, 1.0                                  // 00000000BEAC: D1010006 0001E506
	v_add_f32_e64 v7, v7, 1.0                                  // 00000000BEB4: D1010007 0001E507
	v_rcp_f32_e32 v4, v4                                       // 00000000BEBC: 7E084504
	v_rcp_f32_e32 v5, v5                                       // 00000000BEC0: 7E0A4505
	v_rcp_f32_e32 v6, v6                                       // 00000000BEC4: 7E0C4506
	v_rcp_f32_e32 v7, v7                                       // 00000000BEC8: 7E0E4507
	v_mul_f32_e32 v104, v104, v4                               // 00000000BECC: 0AD00968
	v_mul_f32_e32 v105, v105, v5                               // 00000000BED0: 0AD20B69
	v_mul_f32_e32 v106, v106, v6                               // 00000000BED4: 0AD40D6A
	v_mul_f32_e32 v107, v107, v7                               // 00000000BED8: 0AD60F6B
	v_mul_f32_e32 v104, v104, v168                             // 00000000BEDC: 0AD15168
	v_mul_f32_e32 v105, v105, v169                             // 00000000BEE0: 0AD35369
	v_mul_f32_e32 v106, v106, v170                             // 00000000BEE4: 0AD5556A
	v_mul_f32_e32 v107, v107, v171                             // 00000000BEE8: 0AD7576B
	v_mul_f32_e64 v4, -v108, s6                                // 00000000BEEC: D1050004 20000D6C
	v_mul_f32_e64 v5, -v109, s6                                // 00000000BEF4: D1050005 20000D6D
	v_mul_f32_e64 v6, -v110, s6                                // 00000000BEFC: D1050006 20000D6E
	v_mul_f32_e64 v7, -v111, s6                                // 00000000BF04: D1050007 20000D6F
	v_exp_f32_e32 v4, v4                                       // 00000000BF0C: 7E084104
	v_exp_f32_e32 v5, v5                                       // 00000000BF10: 7E0A4105
	v_exp_f32_e32 v6, v6                                       // 00000000BF14: 7E0C4106
	v_exp_f32_e32 v7, v7                                       // 00000000BF18: 7E0E4107
	v_add_f32_e64 v4, v4, 1.0                                  // 00000000BF1C: D1010004 0001E504
	v_add_f32_e64 v5, v5, 1.0                                  // 00000000BF24: D1010005 0001E505
	v_add_f32_e64 v6, v6, 1.0                                  // 00000000BF2C: D1010006 0001E506
	v_add_f32_e64 v7, v7, 1.0                                  // 00000000BF34: D1010007 0001E507
	v_rcp_f32_e32 v4, v4                                       // 00000000BF3C: 7E084504
	v_rcp_f32_e32 v5, v5                                       // 00000000BF40: 7E0A4505
	v_rcp_f32_e32 v6, v6                                       // 00000000BF44: 7E0C4506
	v_rcp_f32_e32 v7, v7                                       // 00000000BF48: 7E0E4507
	v_mul_f32_e32 v108, v108, v4                               // 00000000BF4C: 0AD8096C
	v_mul_f32_e32 v109, v109, v5                               // 00000000BF50: 0ADA0B6D
	v_mul_f32_e32 v110, v110, v6                               // 00000000BF54: 0ADC0D6E
	v_mul_f32_e32 v111, v111, v7                               // 00000000BF58: 0ADE0F6F
	v_mul_f32_e32 v108, v108, v172                             // 00000000BF5C: 0AD9596C
	v_mul_f32_e32 v109, v109, v173                             // 00000000BF60: 0ADB5B6D
	v_mul_f32_e32 v110, v110, v174                             // 00000000BF64: 0ADD5D6E
	v_mul_f32_e32 v111, v111, v175                             // 00000000BF68: 0ADF5F6F
	v_mul_f32_e64 v4, -v112, s6                                // 00000000BF6C: D1050004 20000D70
	v_mul_f32_e64 v5, -v113, s6                                // 00000000BF74: D1050005 20000D71
	v_mul_f32_e64 v6, -v114, s6                                // 00000000BF7C: D1050006 20000D72
	v_mul_f32_e64 v7, -v115, s6                                // 00000000BF84: D1050007 20000D73
	v_exp_f32_e32 v4, v4                                       // 00000000BF8C: 7E084104
	v_exp_f32_e32 v5, v5                                       // 00000000BF90: 7E0A4105
	v_exp_f32_e32 v6, v6                                       // 00000000BF94: 7E0C4106
	v_exp_f32_e32 v7, v7                                       // 00000000BF98: 7E0E4107
	v_add_f32_e64 v4, v4, 1.0                                  // 00000000BF9C: D1010004 0001E504
	v_add_f32_e64 v5, v5, 1.0                                  // 00000000BFA4: D1010005 0001E505
	v_add_f32_e64 v6, v6, 1.0                                  // 00000000BFAC: D1010006 0001E506
	v_add_f32_e64 v7, v7, 1.0                                  // 00000000BFB4: D1010007 0001E507
	v_rcp_f32_e32 v4, v4                                       // 00000000BFBC: 7E084504
	v_rcp_f32_e32 v5, v5                                       // 00000000BFC0: 7E0A4505
	v_rcp_f32_e32 v6, v6                                       // 00000000BFC4: 7E0C4506
	v_rcp_f32_e32 v7, v7                                       // 00000000BFC8: 7E0E4507
	v_mul_f32_e32 v112, v112, v4                               // 00000000BFCC: 0AE00970
	v_mul_f32_e32 v113, v113, v5                               // 00000000BFD0: 0AE20B71
	v_mul_f32_e32 v114, v114, v6                               // 00000000BFD4: 0AE40D72
	v_mul_f32_e32 v115, v115, v7                               // 00000000BFD8: 0AE60F73
	v_mul_f32_e32 v112, v112, v176                             // 00000000BFDC: 0AE16170
	v_mul_f32_e32 v113, v113, v177                             // 00000000BFE0: 0AE36371
	v_mul_f32_e32 v114, v114, v178                             // 00000000BFE4: 0AE56572
	v_mul_f32_e32 v115, v115, v179                             // 00000000BFE8: 0AE76773
	v_mul_f32_e64 v4, -v116, s6                                // 00000000BFEC: D1050004 20000D74
	v_mul_f32_e64 v5, -v117, s6                                // 00000000BFF4: D1050005 20000D75
	v_mul_f32_e64 v6, -v118, s6                                // 00000000BFFC: D1050006 20000D76
	v_mul_f32_e64 v7, -v119, s6                                // 00000000C004: D1050007 20000D77
	v_exp_f32_e32 v4, v4                                       // 00000000C00C: 7E084104
	v_exp_f32_e32 v5, v5                                       // 00000000C010: 7E0A4105
	v_exp_f32_e32 v6, v6                                       // 00000000C014: 7E0C4106
	v_exp_f32_e32 v7, v7                                       // 00000000C018: 7E0E4107
	v_add_f32_e64 v4, v4, 1.0                                  // 00000000C01C: D1010004 0001E504
	v_add_f32_e64 v5, v5, 1.0                                  // 00000000C024: D1010005 0001E505
	v_add_f32_e64 v6, v6, 1.0                                  // 00000000C02C: D1010006 0001E506
	v_add_f32_e64 v7, v7, 1.0                                  // 00000000C034: D1010007 0001E507
	v_rcp_f32_e32 v4, v4                                       // 00000000C03C: 7E084504
	v_rcp_f32_e32 v5, v5                                       // 00000000C040: 7E0A4505
	v_rcp_f32_e32 v6, v6                                       // 00000000C044: 7E0C4506
	v_rcp_f32_e32 v7, v7                                       // 00000000C048: 7E0E4507
	v_mul_f32_e32 v116, v116, v4                               // 00000000C04C: 0AE80974
	v_mul_f32_e32 v117, v117, v5                               // 00000000C050: 0AEA0B75
	v_mul_f32_e32 v118, v118, v6                               // 00000000C054: 0AEC0D76
	v_mul_f32_e32 v119, v119, v7                               // 00000000C058: 0AEE0F77
	v_mul_f32_e32 v116, v116, v180                             // 00000000C05C: 0AE96974
	v_mul_f32_e32 v117, v117, v181                             // 00000000C060: 0AEB6B75
	v_mul_f32_e32 v118, v118, v182                             // 00000000C064: 0AED6D76
	v_mul_f32_e32 v119, v119, v183                             // 00000000C068: 0AEF6F77
	v_mul_f32_e64 v4, -v120, s6                                // 00000000C06C: D1050004 20000D78
	v_mul_f32_e64 v5, -v121, s6                                // 00000000C074: D1050005 20000D79
	v_mul_f32_e64 v6, -v122, s6                                // 00000000C07C: D1050006 20000D7A
	v_mul_f32_e64 v7, -v123, s6                                // 00000000C084: D1050007 20000D7B
	v_exp_f32_e32 v4, v4                                       // 00000000C08C: 7E084104
	v_exp_f32_e32 v5, v5                                       // 00000000C090: 7E0A4105
	v_exp_f32_e32 v6, v6                                       // 00000000C094: 7E0C4106
	v_exp_f32_e32 v7, v7                                       // 00000000C098: 7E0E4107
	v_add_f32_e64 v4, v4, 1.0                                  // 00000000C09C: D1010004 0001E504
	v_add_f32_e64 v5, v5, 1.0                                  // 00000000C0A4: D1010005 0001E505
	v_add_f32_e64 v6, v6, 1.0                                  // 00000000C0AC: D1010006 0001E506
	v_add_f32_e64 v7, v7, 1.0                                  // 00000000C0B4: D1010007 0001E507
	v_rcp_f32_e32 v4, v4                                       // 00000000C0BC: 7E084504
	v_rcp_f32_e32 v5, v5                                       // 00000000C0C0: 7E0A4505
	v_rcp_f32_e32 v6, v6                                       // 00000000C0C4: 7E0C4506
	v_rcp_f32_e32 v7, v7                                       // 00000000C0C8: 7E0E4507
	v_mul_f32_e32 v120, v120, v4                               // 00000000C0CC: 0AF00978
	v_mul_f32_e32 v121, v121, v5                               // 00000000C0D0: 0AF20B79
	v_mul_f32_e32 v122, v122, v6                               // 00000000C0D4: 0AF40D7A
	v_mul_f32_e32 v123, v123, v7                               // 00000000C0D8: 0AF60F7B
	v_mul_f32_e32 v120, v120, v184                             // 00000000C0DC: 0AF17178
	v_mul_f32_e32 v121, v121, v185                             // 00000000C0E0: 0AF37379
	v_mul_f32_e32 v122, v122, v186                             // 00000000C0E4: 0AF5757A
	v_mul_f32_e32 v123, v123, v187                             // 00000000C0E8: 0AF7777B
	v_mul_f32_e64 v4, -v124, s6                                // 00000000C0EC: D1050004 20000D7C
	v_mul_f32_e64 v5, -v125, s6                                // 00000000C0F4: D1050005 20000D7D
	v_mul_f32_e64 v6, -v126, s6                                // 00000000C0FC: D1050006 20000D7E
	v_mul_f32_e64 v7, -v127, s6                                // 00000000C104: D1050007 20000D7F
	v_exp_f32_e32 v4, v4                                       // 00000000C10C: 7E084104
	v_exp_f32_e32 v5, v5                                       // 00000000C110: 7E0A4105
	v_exp_f32_e32 v6, v6                                       // 00000000C114: 7E0C4106
	v_exp_f32_e32 v7, v7                                       // 00000000C118: 7E0E4107
	v_add_f32_e64 v4, v4, 1.0                                  // 00000000C11C: D1010004 0001E504
	v_add_f32_e64 v5, v5, 1.0                                  // 00000000C124: D1010005 0001E505
	v_add_f32_e64 v6, v6, 1.0                                  // 00000000C12C: D1010006 0001E506
	v_add_f32_e64 v7, v7, 1.0                                  // 00000000C134: D1010007 0001E507
	v_rcp_f32_e32 v4, v4                                       // 00000000C13C: 7E084504
	v_rcp_f32_e32 v5, v5                                       // 00000000C140: 7E0A4505
	v_rcp_f32_e32 v6, v6                                       // 00000000C144: 7E0C4506
	v_rcp_f32_e32 v7, v7                                       // 00000000C148: 7E0E4507
	v_mul_f32_e32 v124, v124, v4                               // 00000000C14C: 0AF8097C
	v_mul_f32_e32 v125, v125, v5                               // 00000000C150: 0AFA0B7D
	v_mul_f32_e32 v126, v126, v6                               // 00000000C154: 0AFC0D7E
	v_mul_f32_e32 v127, v127, v7                               // 00000000C158: 0AFE0F7F
	v_mul_f32_e32 v124, v124, v188                             // 00000000C15C: 0AF9797C
	v_mul_f32_e32 v125, v125, v189                             // 00000000C160: 0AFB7B7D
	v_mul_f32_e32 v126, v126, v190                             // 00000000C164: 0AFD7D7E
	v_mul_f32_e32 v127, v127, v191                             // 00000000C168: 0AFF7F7F
	v_mul_f32_e64 v4, -v128, s6                                // 00000000C16C: D1050004 20000D80
	v_mul_f32_e64 v5, -v129, s6                                // 00000000C174: D1050005 20000D81
	v_mul_f32_e64 v6, -v130, s6                                // 00000000C17C: D1050006 20000D82
	v_mul_f32_e64 v7, -v131, s6                                // 00000000C184: D1050007 20000D83
	v_exp_f32_e32 v4, v4                                       // 00000000C18C: 7E084104
	v_exp_f32_e32 v5, v5                                       // 00000000C190: 7E0A4105
	v_exp_f32_e32 v6, v6                                       // 00000000C194: 7E0C4106
	v_exp_f32_e32 v7, v7                                       // 00000000C198: 7E0E4107
	v_add_f32_e64 v4, v4, 1.0                                  // 00000000C19C: D1010004 0001E504
	v_add_f32_e64 v5, v5, 1.0                                  // 00000000C1A4: D1010005 0001E505
	v_add_f32_e64 v6, v6, 1.0                                  // 00000000C1AC: D1010006 0001E506
	v_add_f32_e64 v7, v7, 1.0                                  // 00000000C1B4: D1010007 0001E507
	v_rcp_f32_e32 v4, v4                                       // 00000000C1BC: 7E084504
	v_rcp_f32_e32 v5, v5                                       // 00000000C1C0: 7E0A4505
	v_rcp_f32_e32 v6, v6                                       // 00000000C1C4: 7E0C4506
	v_rcp_f32_e32 v7, v7                                       // 00000000C1C8: 7E0E4507
	v_mul_f32_e32 v128, v128, v4                               // 00000000C1CC: 0B000980
	v_mul_f32_e32 v129, v129, v5                               // 00000000C1D0: 0B020B81
	v_mul_f32_e32 v130, v130, v6                               // 00000000C1D4: 0B040D82
	v_mul_f32_e32 v131, v131, v7                               // 00000000C1D8: 0B060F83
	v_mul_f32_e32 v128, v128, v192                             // 00000000C1DC: 0B018180
	v_mul_f32_e32 v129, v129, v193                             // 00000000C1E0: 0B038381
	v_mul_f32_e32 v130, v130, v194                             // 00000000C1E4: 0B058582
	v_mul_f32_e32 v131, v131, v195                             // 00000000C1E8: 0B078783
	v_mul_f32_e64 v4, -v132, s6                                // 00000000C1EC: D1050004 20000D84
	v_mul_f32_e64 v5, -v133, s6                                // 00000000C1F4: D1050005 20000D85
	v_mul_f32_e64 v6, -v134, s6                                // 00000000C1FC: D1050006 20000D86
	v_mul_f32_e64 v7, -v135, s6                                // 00000000C204: D1050007 20000D87
	v_exp_f32_e32 v4, v4                                       // 00000000C20C: 7E084104
	v_exp_f32_e32 v5, v5                                       // 00000000C210: 7E0A4105
	v_exp_f32_e32 v6, v6                                       // 00000000C214: 7E0C4106
	v_exp_f32_e32 v7, v7                                       // 00000000C218: 7E0E4107
	v_add_f32_e64 v4, v4, 1.0                                  // 00000000C21C: D1010004 0001E504
	v_add_f32_e64 v5, v5, 1.0                                  // 00000000C224: D1010005 0001E505
	v_add_f32_e64 v6, v6, 1.0                                  // 00000000C22C: D1010006 0001E506
	v_add_f32_e64 v7, v7, 1.0                                  // 00000000C234: D1010007 0001E507
	v_rcp_f32_e32 v4, v4                                       // 00000000C23C: 7E084504
	v_rcp_f32_e32 v5, v5                                       // 00000000C240: 7E0A4505
	v_rcp_f32_e32 v6, v6                                       // 00000000C244: 7E0C4506
	v_rcp_f32_e32 v7, v7                                       // 00000000C248: 7E0E4507
	v_mul_f32_e32 v132, v132, v4                               // 00000000C24C: 0B080984
	v_mul_f32_e32 v133, v133, v5                               // 00000000C250: 0B0A0B85
	v_mul_f32_e32 v134, v134, v6                               // 00000000C254: 0B0C0D86
	v_mul_f32_e32 v135, v135, v7                               // 00000000C258: 0B0E0F87
	v_mul_f32_e32 v132, v132, v196                             // 00000000C25C: 0B098984
	v_mul_f32_e32 v133, v133, v197                             // 00000000C260: 0B0B8B85
	v_mul_f32_e32 v134, v134, v198                             // 00000000C264: 0B0D8D86
	v_mul_f32_e32 v135, v135, v199                             // 00000000C268: 0B0F8F87
	v_mul_f32_e64 v4, -v136, s6                                // 00000000C26C: D1050004 20000D88
	v_mul_f32_e64 v5, -v137, s6                                // 00000000C274: D1050005 20000D89
	v_mul_f32_e64 v6, -v138, s6                                // 00000000C27C: D1050006 20000D8A
	v_mul_f32_e64 v7, -v139, s6                                // 00000000C284: D1050007 20000D8B
	v_exp_f32_e32 v4, v4                                       // 00000000C28C: 7E084104
	v_exp_f32_e32 v5, v5                                       // 00000000C290: 7E0A4105
	v_exp_f32_e32 v6, v6                                       // 00000000C294: 7E0C4106
	v_exp_f32_e32 v7, v7                                       // 00000000C298: 7E0E4107
	v_add_f32_e64 v4, v4, 1.0                                  // 00000000C29C: D1010004 0001E504
	v_add_f32_e64 v5, v5, 1.0                                  // 00000000C2A4: D1010005 0001E505
	v_add_f32_e64 v6, v6, 1.0                                  // 00000000C2AC: D1010006 0001E506
	v_add_f32_e64 v7, v7, 1.0                                  // 00000000C2B4: D1010007 0001E507
	v_rcp_f32_e32 v4, v4                                       // 00000000C2BC: 7E084504
	v_rcp_f32_e32 v5, v5                                       // 00000000C2C0: 7E0A4505
	v_rcp_f32_e32 v6, v6                                       // 00000000C2C4: 7E0C4506
	v_rcp_f32_e32 v7, v7                                       // 00000000C2C8: 7E0E4507
	v_mul_f32_e32 v136, v136, v4                               // 00000000C2CC: 0B100988
	v_mul_f32_e32 v137, v137, v5                               // 00000000C2D0: 0B120B89
	v_mul_f32_e32 v138, v138, v6                               // 00000000C2D4: 0B140D8A
	v_mul_f32_e32 v139, v139, v7                               // 00000000C2D8: 0B160F8B
	v_mul_f32_e32 v136, v136, v200                             // 00000000C2DC: 0B119188
	v_mul_f32_e32 v137, v137, v201                             // 00000000C2E0: 0B139389
	v_mul_f32_e32 v138, v138, v202                             // 00000000C2E4: 0B15958A
	v_mul_f32_e32 v139, v139, v203                             // 00000000C2E8: 0B17978B
	v_mul_f32_e64 v4, -v140, s6                                // 00000000C2EC: D1050004 20000D8C
	v_mul_f32_e64 v5, -v141, s6                                // 00000000C2F4: D1050005 20000D8D
	v_mul_f32_e64 v6, -v142, s6                                // 00000000C2FC: D1050006 20000D8E
	v_mul_f32_e64 v7, -v143, s6                                // 00000000C304: D1050007 20000D8F
	v_exp_f32_e32 v4, v4                                       // 00000000C30C: 7E084104
	v_exp_f32_e32 v5, v5                                       // 00000000C310: 7E0A4105
	v_exp_f32_e32 v6, v6                                       // 00000000C314: 7E0C4106
	v_exp_f32_e32 v7, v7                                       // 00000000C318: 7E0E4107
	v_add_f32_e64 v4, v4, 1.0                                  // 00000000C31C: D1010004 0001E504
	v_add_f32_e64 v5, v5, 1.0                                  // 00000000C324: D1010005 0001E505
	v_add_f32_e64 v6, v6, 1.0                                  // 00000000C32C: D1010006 0001E506
	v_add_f32_e64 v7, v7, 1.0                                  // 00000000C334: D1010007 0001E507
	v_rcp_f32_e32 v4, v4                                       // 00000000C33C: 7E084504
	v_rcp_f32_e32 v5, v5                                       // 00000000C340: 7E0A4505
	v_rcp_f32_e32 v6, v6                                       // 00000000C344: 7E0C4506
	v_rcp_f32_e32 v7, v7                                       // 00000000C348: 7E0E4507
	v_mul_f32_e32 v140, v140, v4                               // 00000000C34C: 0B18098C
	v_mul_f32_e32 v141, v141, v5                               // 00000000C350: 0B1A0B8D
	v_mul_f32_e32 v142, v142, v6                               // 00000000C354: 0B1C0D8E
	v_mul_f32_e32 v143, v143, v7                               // 00000000C358: 0B1E0F8F
	v_mul_f32_e32 v140, v140, v204                             // 00000000C35C: 0B19998C
	v_mul_f32_e32 v141, v141, v205                             // 00000000C360: 0B1B9B8D
	v_mul_f32_e32 v142, v142, v206                             // 00000000C364: 0B1D9D8E
	v_mul_f32_e32 v143, v143, v207                             // 00000000C368: 0B1F9F8F

000000000000c36c <label_265E>:
	s_cmp_eq_u32 s7, 0                                         // 00000000C36C: BF068007
	s_cbranch_scc0 label_267A                                  // 00000000C370: BF84001A
	v_and_b32_e32 v4, 15, v0                                   // 00000000C374: 2608008F
	v_lshlrev_b32_e32 v4, 2, v4                                // 00000000C378: 24080882
	buffer_load_dword v28, v4, s[12:15], 0 offen               // 00000000C37C: E0501000 80031C04
	v_add_u32_e32 v4, 64, v4                                   // 00000000C384: 680808C0
	buffer_load_dword v29, v4, s[12:15], 0 offen               // 00000000C388: E0501000 80031D04
	v_add_u32_e32 v4, 64, v4                                   // 00000000C390: 680808C0
	buffer_load_dword v30, v4, s[12:15], 0 offen               // 00000000C394: E0501000 80031E04
	v_add_u32_e32 v4, 64, v4                                   // 00000000C39C: 680808C0
	buffer_load_dword v31, v4, s[12:15], 0 offen               // 00000000C3A0: E0501000 80031F04
	v_add_u32_e32 v4, 64, v4                                   // 00000000C3A8: 680808C0
	buffer_load_dword v32, v4, s[12:15], 0 offen               // 00000000C3AC: E0501000 80032004
	v_add_u32_e32 v4, 64, v4                                   // 00000000C3B4: 680808C0
	buffer_load_dword v33, v4, s[12:15], 0 offen               // 00000000C3B8: E0501000 80032104
	v_add_u32_e32 v4, 64, v4                                   // 00000000C3C0: 680808C0
	buffer_load_dword v34, v4, s[12:15], 0 offen               // 00000000C3C4: E0501000 80032204
	v_add_u32_e32 v4, 64, v4                                   // 00000000C3CC: 680808C0
	buffer_load_dword v35, v4, s[12:15], 0 offen               // 00000000C3D0: E0501000 80032304
	v_add_u32_e32 v4, 64, v4                                   // 00000000C3D8: 680808C0

000000000000c3dc <label_267A>:
	v_lshlrev_b32_e32 v4, 2, v0                                // 00000000C3DC: 24080082
	s_mul_i32 s60, 0x100, s7                                   // 00000000C3E0: 923C07FF 00000100
	v_add_u32_e32 v152, s60, v4                                // 00000000C3E8: 6930083C
	v_and_b32_e32 v4, 15, v0                                   // 00000000C3EC: 2608008F
	v_lshlrev_b32_e32 v153, 2, v4                              // 00000000C3F0: 25320882
	s_waitcnt lgkmcnt(0)                                       // 00000000C3F4: BF8CC07F
	s_barrier                                                  // 00000000C3F8: BF8A0000
	v_mov_b32_e32 v144, 0x358637bd                             // 00000000C3FC: 7F2002FF 358637BD
	v_max3_f32 v144, |v80|, |v81|, v144                        // 00000000C404: D1D30390 0642A350
	v_max3_f32 v144, |v82|, |v83|, v144                        // 00000000C40C: D1D30390 0642A752
	v_max3_f32 v144, |v112|, |v113|, v144                      // 00000000C414: D1D30390 0642E370
	v_max3_f32 v144, |v114|, |v115|, v144                      // 00000000C41C: D1D30390 0642E772
	ds_write_b32 v152, v144                                    // 00000000C424: D81A0000 00009098
	s_waitcnt lgkmcnt(0)                                       // 00000000C42C: BF8CC07F
	s_barrier                                                  // 00000000C430: BF8A0000
	ds_read_b32 v4, v153                                       // 00000000C434: D86C0000 04000099
	ds_read_b32 v5, v153 offset:64                             // 00000000C43C: D86C0040 05000099
	ds_read_b32 v6, v153 offset:128                            // 00000000C444: D86C0080 06000099
	ds_read_b32 v7, v153 offset:192                            // 00000000C44C: D86C00C0 07000099
	ds_read_b32 v8, v153 offset:256                            // 00000000C454: D86C0100 08000099
	ds_read_b32 v9, v153 offset:320                            // 00000000C45C: D86C0140 09000099
	ds_read_b32 v10, v153 offset:384                           // 00000000C464: D86C0180 0A000099
	ds_read_b32 v11, v153 offset:448                           // 00000000C46C: D86C01C0 0B000099
	ds_read_b32 v12, v153 offset:512                           // 00000000C474: D86C0200 0C000099
	ds_read_b32 v13, v153 offset:576                           // 00000000C47C: D86C0240 0D000099
	ds_read_b32 v14, v153 offset:640                           // 00000000C484: D86C0280 0E000099
	ds_read_b32 v15, v153 offset:704                           // 00000000C48C: D86C02C0 0F000099
	ds_read_b32 v16, v153 offset:768                           // 00000000C494: D86C0300 10000099
	ds_read_b32 v17, v153 offset:832                           // 00000000C49C: D86C0340 11000099
	ds_read_b32 v18, v153 offset:896                           // 00000000C4A4: D86C0380 12000099
	ds_read_b32 v19, v153 offset:960                           // 00000000C4AC: D86C03C0 13000099
	s_waitcnt lgkmcnt(0)                                       // 00000000C4B4: BF8CC07F
	s_barrier                                                  // 00000000C4B8: BF8A0000
	v_max3_f32 v144, |v4|, |v5|, v144                          // 00000000C4BC: D1D30390 06420B04
	v_max3_f32 v144, |v6|, |v7|, v144                          // 00000000C4C4: D1D30390 06420F06
	v_max3_f32 v144, |v8|, |v9|, v144                          // 00000000C4CC: D1D30390 06421308
	v_max3_f32 v144, |v10|, |v11|, v144                        // 00000000C4D4: D1D30390 0642170A
	v_max3_f32 v144, |v12|, |v13|, v144                        // 00000000C4DC: D1D30390 06421B0C
	v_max3_f32 v144, |v14|, |v15|, v144                        // 00000000C4E4: D1D30390 06421F0E
	v_max3_f32 v144, |v16|, |v17|, v144                        // 00000000C4EC: D1D30390 06422310
	v_max3_f32 v144, |v18|, |v19|, v144                        // 00000000C4F4: D1D30390 06422712
	v_rcp_f32_e32 v144, v144                                   // 00000000C4FC: 7F204590
	v_mov_b32_e32 v4, 0x43700000                               // 00000000C500: 7E0802FF 43700000
	v_mul_f32_e32 v144, v4, v144                               // 00000000C508: 0B212104
	v_mov_b32_e32 v4, v144                                     // 00000000C50C: 7E080390
	v_mov_b32_e32 v5, v4                                       // 00000000C510: 7E0A0304
	v_pk_mul_f32 v[80:81], v[4:5], v[80:81]                    // 00000000C514: D3B14050 1802A104
	v_pk_mul_f32 v[82:83], v[4:5], v[82:83]                    // 00000000C51C: D3B14052 1802A504
	v_cvt_pk_fp8_f32 v80, v80, v81                             // 00000000C524: D2A20050 0002A350
	v_cvt_pk_fp8_f32 v80, v82, v83 op_sel:[0,0,1]              // 00000000C52C: D2A24050 0002A752
	v_pk_mul_f32 v[112:113], v[4:5], v[112:113]                // 00000000C534: D3B14070 1802E104
	v_pk_mul_f32 v[114:115], v[4:5], v[114:115]                // 00000000C53C: D3B14072 1802E504
	v_cvt_pk_fp8_f32 v112, v112, v113                          // 00000000C544: D2A20070 0002E370
	v_cvt_pk_fp8_f32 v112, v114, v115 op_sel:[0,0,1]           // 00000000C54C: D2A24070 0002E772
	v_rcp_f32_e32 v144, v144                                   // 00000000C554: 7F204590
	v_mov_b32_e32 v145, 0x358637bd                             // 00000000C558: 7F2202FF 358637BD
	v_max3_f32 v145, |v84|, |v85|, v145                        // 00000000C560: D1D30391 0646AB54
	v_max3_f32 v145, |v86|, |v87|, v145                        // 00000000C568: D1D30391 0646AF56
	v_max3_f32 v145, |v116|, |v117|, v145                      // 00000000C570: D1D30391 0646EB74
	v_max3_f32 v145, |v118|, |v119|, v145                      // 00000000C578: D1D30391 0646EF76
	ds_write_b32 v152, v145                                    // 00000000C580: D81A0000 00009198
	s_waitcnt lgkmcnt(0)                                       // 00000000C588: BF8CC07F
	s_barrier                                                  // 00000000C58C: BF8A0000
	ds_read_b32 v4, v153                                       // 00000000C590: D86C0000 04000099
	ds_read_b32 v5, v153 offset:64                             // 00000000C598: D86C0040 05000099
	ds_read_b32 v6, v153 offset:128                            // 00000000C5A0: D86C0080 06000099
	ds_read_b32 v7, v153 offset:192                            // 00000000C5A8: D86C00C0 07000099
	ds_read_b32 v8, v153 offset:256                            // 00000000C5B0: D86C0100 08000099
	ds_read_b32 v9, v153 offset:320                            // 00000000C5B8: D86C0140 09000099
	ds_read_b32 v10, v153 offset:384                           // 00000000C5C0: D86C0180 0A000099
	ds_read_b32 v11, v153 offset:448                           // 00000000C5C8: D86C01C0 0B000099
	ds_read_b32 v12, v153 offset:512                           // 00000000C5D0: D86C0200 0C000099
	ds_read_b32 v13, v153 offset:576                           // 00000000C5D8: D86C0240 0D000099
	ds_read_b32 v14, v153 offset:640                           // 00000000C5E0: D86C0280 0E000099
	ds_read_b32 v15, v153 offset:704                           // 00000000C5E8: D86C02C0 0F000099
	ds_read_b32 v16, v153 offset:768                           // 00000000C5F0: D86C0300 10000099
	ds_read_b32 v17, v153 offset:832                           // 00000000C5F8: D86C0340 11000099
	ds_read_b32 v18, v153 offset:896                           // 00000000C600: D86C0380 12000099
	ds_read_b32 v19, v153 offset:960                           // 00000000C608: D86C03C0 13000099
	s_waitcnt lgkmcnt(0)                                       // 00000000C610: BF8CC07F
	s_barrier                                                  // 00000000C614: BF8A0000
	v_max3_f32 v145, |v4|, |v5|, v145                          // 00000000C618: D1D30391 06460B04
	v_max3_f32 v145, |v6|, |v7|, v145                          // 00000000C620: D1D30391 06460F06
	v_max3_f32 v145, |v8|, |v9|, v145                          // 00000000C628: D1D30391 06461308
	v_max3_f32 v145, |v10|, |v11|, v145                        // 00000000C630: D1D30391 0646170A
	v_max3_f32 v145, |v12|, |v13|, v145                        // 00000000C638: D1D30391 06461B0C
	v_max3_f32 v145, |v14|, |v15|, v145                        // 00000000C640: D1D30391 06461F0E
	v_max3_f32 v145, |v16|, |v17|, v145                        // 00000000C648: D1D30391 06462310
	v_max3_f32 v145, |v18|, |v19|, v145                        // 00000000C650: D1D30391 06462712
	v_rcp_f32_e32 v145, v145                                   // 00000000C658: 7F224591
	v_mov_b32_e32 v4, 0x43700000                               // 00000000C65C: 7E0802FF 43700000
	v_mul_f32_e32 v145, v4, v145                               // 00000000C664: 0B232304
	v_mov_b32_e32 v4, v145                                     // 00000000C668: 7E080391
	v_mov_b32_e32 v5, v4                                       // 00000000C66C: 7E0A0304
	v_pk_mul_f32 v[84:85], v[4:5], v[84:85]                    // 00000000C670: D3B14054 1802A904
	v_pk_mul_f32 v[86:87], v[4:5], v[86:87]                    // 00000000C678: D3B14056 1802AD04
	v_cvt_pk_fp8_f32 v84, v84, v85                             // 00000000C680: D2A20054 0002AB54
	v_cvt_pk_fp8_f32 v84, v86, v87 op_sel:[0,0,1]              // 00000000C688: D2A24054 0002AF56
	v_pk_mul_f32 v[116:117], v[4:5], v[116:117]                // 00000000C690: D3B14074 1802E904
	v_pk_mul_f32 v[118:119], v[4:5], v[118:119]                // 00000000C698: D3B14076 1802ED04
	v_cvt_pk_fp8_f32 v116, v116, v117                          // 00000000C6A0: D2A20074 0002EB74
	v_cvt_pk_fp8_f32 v116, v118, v119 op_sel:[0,0,1]           // 00000000C6A8: D2A24074 0002EF76
	v_rcp_f32_e32 v145, v145                                   // 00000000C6B0: 7F224591
	v_mov_b32_e32 v146, 0x358637bd                             // 00000000C6B4: 7F2402FF 358637BD
	v_max3_f32 v146, |v88|, |v89|, v146                        // 00000000C6BC: D1D30392 064AB358
	v_max3_f32 v146, |v90|, |v91|, v146                        // 00000000C6C4: D1D30392 064AB75A
	v_max3_f32 v146, |v120|, |v121|, v146                      // 00000000C6CC: D1D30392 064AF378
	v_max3_f32 v146, |v122|, |v123|, v146                      // 00000000C6D4: D1D30392 064AF77A
	ds_write_b32 v152, v146                                    // 00000000C6DC: D81A0000 00009298
	s_waitcnt lgkmcnt(0)                                       // 00000000C6E4: BF8CC07F
	s_barrier                                                  // 00000000C6E8: BF8A0000
	ds_read_b32 v4, v153                                       // 00000000C6EC: D86C0000 04000099
	ds_read_b32 v5, v153 offset:64                             // 00000000C6F4: D86C0040 05000099
	ds_read_b32 v6, v153 offset:128                            // 00000000C6FC: D86C0080 06000099
	ds_read_b32 v7, v153 offset:192                            // 00000000C704: D86C00C0 07000099
	ds_read_b32 v8, v153 offset:256                            // 00000000C70C: D86C0100 08000099
	ds_read_b32 v9, v153 offset:320                            // 00000000C714: D86C0140 09000099
	ds_read_b32 v10, v153 offset:384                           // 00000000C71C: D86C0180 0A000099
	ds_read_b32 v11, v153 offset:448                           // 00000000C724: D86C01C0 0B000099
	ds_read_b32 v12, v153 offset:512                           // 00000000C72C: D86C0200 0C000099
	ds_read_b32 v13, v153 offset:576                           // 00000000C734: D86C0240 0D000099
	ds_read_b32 v14, v153 offset:640                           // 00000000C73C: D86C0280 0E000099
	ds_read_b32 v15, v153 offset:704                           // 00000000C744: D86C02C0 0F000099
	ds_read_b32 v16, v153 offset:768                           // 00000000C74C: D86C0300 10000099
	ds_read_b32 v17, v153 offset:832                           // 00000000C754: D86C0340 11000099
	ds_read_b32 v18, v153 offset:896                           // 00000000C75C: D86C0380 12000099
	ds_read_b32 v19, v153 offset:960                           // 00000000C764: D86C03C0 13000099
	s_waitcnt lgkmcnt(0)                                       // 00000000C76C: BF8CC07F
	s_barrier                                                  // 00000000C770: BF8A0000
	v_max3_f32 v146, |v4|, |v5|, v146                          // 00000000C774: D1D30392 064A0B04
	v_max3_f32 v146, |v6|, |v7|, v146                          // 00000000C77C: D1D30392 064A0F06
	v_max3_f32 v146, |v8|, |v9|, v146                          // 00000000C784: D1D30392 064A1308
	v_max3_f32 v146, |v10|, |v11|, v146                        // 00000000C78C: D1D30392 064A170A
	v_max3_f32 v146, |v12|, |v13|, v146                        // 00000000C794: D1D30392 064A1B0C
	v_max3_f32 v146, |v14|, |v15|, v146                        // 00000000C79C: D1D30392 064A1F0E
	v_max3_f32 v146, |v16|, |v17|, v146                        // 00000000C7A4: D1D30392 064A2310
	v_max3_f32 v146, |v18|, |v19|, v146                        // 00000000C7AC: D1D30392 064A2712
	v_rcp_f32_e32 v146, v146                                   // 00000000C7B4: 7F244592
	v_mov_b32_e32 v4, 0x43700000                               // 00000000C7B8: 7E0802FF 43700000
	v_mul_f32_e32 v146, v4, v146                               // 00000000C7C0: 0B252504
	v_mov_b32_e32 v4, v146                                     // 00000000C7C4: 7E080392
	v_mov_b32_e32 v5, v4                                       // 00000000C7C8: 7E0A0304
	v_pk_mul_f32 v[88:89], v[4:5], v[88:89]                    // 00000000C7CC: D3B14058 1802B104
	v_pk_mul_f32 v[90:91], v[4:5], v[90:91]                    // 00000000C7D4: D3B1405A 1802B504
	v_cvt_pk_fp8_f32 v88, v88, v89                             // 00000000C7DC: D2A20058 0002B358
	v_cvt_pk_fp8_f32 v88, v90, v91 op_sel:[0,0,1]              // 00000000C7E4: D2A24058 0002B75A
	v_pk_mul_f32 v[120:121], v[4:5], v[120:121]                // 00000000C7EC: D3B14078 1802F104
	v_pk_mul_f32 v[122:123], v[4:5], v[122:123]                // 00000000C7F4: D3B1407A 1802F504
	v_cvt_pk_fp8_f32 v120, v120, v121                          // 00000000C7FC: D2A20078 0002F378
	v_cvt_pk_fp8_f32 v120, v122, v123 op_sel:[0,0,1]           // 00000000C804: D2A24078 0002F77A
	v_rcp_f32_e32 v146, v146                                   // 00000000C80C: 7F244592
	v_mov_b32_e32 v147, 0x358637bd                             // 00000000C810: 7F2602FF 358637BD
	v_max3_f32 v147, |v92|, |v93|, v147                        // 00000000C818: D1D30393 064EBB5C
	v_max3_f32 v147, |v94|, |v95|, v147                        // 00000000C820: D1D30393 064EBF5E
	v_max3_f32 v147, |v124|, |v125|, v147                      // 00000000C828: D1D30393 064EFB7C
	v_max3_f32 v147, |v126|, |v127|, v147                      // 00000000C830: D1D30393 064EFF7E
	ds_write_b32 v152, v147                                    // 00000000C838: D81A0000 00009398
	s_waitcnt lgkmcnt(0)                                       // 00000000C840: BF8CC07F
	s_barrier                                                  // 00000000C844: BF8A0000
	ds_read_b32 v4, v153                                       // 00000000C848: D86C0000 04000099
	ds_read_b32 v5, v153 offset:64                             // 00000000C850: D86C0040 05000099
	ds_read_b32 v6, v153 offset:128                            // 00000000C858: D86C0080 06000099
	ds_read_b32 v7, v153 offset:192                            // 00000000C860: D86C00C0 07000099
	ds_read_b32 v8, v153 offset:256                            // 00000000C868: D86C0100 08000099
	ds_read_b32 v9, v153 offset:320                            // 00000000C870: D86C0140 09000099
	ds_read_b32 v10, v153 offset:384                           // 00000000C878: D86C0180 0A000099
	ds_read_b32 v11, v153 offset:448                           // 00000000C880: D86C01C0 0B000099
	ds_read_b32 v12, v153 offset:512                           // 00000000C888: D86C0200 0C000099
	ds_read_b32 v13, v153 offset:576                           // 00000000C890: D86C0240 0D000099
	ds_read_b32 v14, v153 offset:640                           // 00000000C898: D86C0280 0E000099
	ds_read_b32 v15, v153 offset:704                           // 00000000C8A0: D86C02C0 0F000099
	ds_read_b32 v16, v153 offset:768                           // 00000000C8A8: D86C0300 10000099
	ds_read_b32 v17, v153 offset:832                           // 00000000C8B0: D86C0340 11000099
	ds_read_b32 v18, v153 offset:896                           // 00000000C8B8: D86C0380 12000099
	ds_read_b32 v19, v153 offset:960                           // 00000000C8C0: D86C03C0 13000099
	s_waitcnt lgkmcnt(0)                                       // 00000000C8C8: BF8CC07F
	s_barrier                                                  // 00000000C8CC: BF8A0000
	v_max3_f32 v147, |v4|, |v5|, v147                          // 00000000C8D0: D1D30393 064E0B04
	v_max3_f32 v147, |v6|, |v7|, v147                          // 00000000C8D8: D1D30393 064E0F06
	v_max3_f32 v147, |v8|, |v9|, v147                          // 00000000C8E0: D1D30393 064E1308
	v_max3_f32 v147, |v10|, |v11|, v147                        // 00000000C8E8: D1D30393 064E170A
	v_max3_f32 v147, |v12|, |v13|, v147                        // 00000000C8F0: D1D30393 064E1B0C
	v_max3_f32 v147, |v14|, |v15|, v147                        // 00000000C8F8: D1D30393 064E1F0E
	v_max3_f32 v147, |v16|, |v17|, v147                        // 00000000C900: D1D30393 064E2310
	v_max3_f32 v147, |v18|, |v19|, v147                        // 00000000C908: D1D30393 064E2712
	v_rcp_f32_e32 v147, v147                                   // 00000000C910: 7F264593
	v_mov_b32_e32 v4, 0x43700000                               // 00000000C914: 7E0802FF 43700000
	v_mul_f32_e32 v147, v4, v147                               // 00000000C91C: 0B272704
	v_mov_b32_e32 v4, v147                                     // 00000000C920: 7E080393
	v_mov_b32_e32 v5, v4                                       // 00000000C924: 7E0A0304
	v_pk_mul_f32 v[92:93], v[4:5], v[92:93]                    // 00000000C928: D3B1405C 1802B904
	v_pk_mul_f32 v[94:95], v[4:5], v[94:95]                    // 00000000C930: D3B1405E 1802BD04
	v_cvt_pk_fp8_f32 v92, v92, v93                             // 00000000C938: D2A2005C 0002BB5C
	v_cvt_pk_fp8_f32 v92, v94, v95 op_sel:[0,0,1]              // 00000000C940: D2A2405C 0002BF5E
	v_pk_mul_f32 v[124:125], v[4:5], v[124:125]                // 00000000C948: D3B1407C 1802F904
	v_pk_mul_f32 v[126:127], v[4:5], v[126:127]                // 00000000C950: D3B1407E 1802FD04
	v_cvt_pk_fp8_f32 v124, v124, v125                          // 00000000C958: D2A2007C 0002FB7C
	v_cvt_pk_fp8_f32 v124, v126, v127 op_sel:[0,0,1]           // 00000000C960: D2A2407C 0002FF7E
	v_rcp_f32_e32 v147, v147                                   // 00000000C968: 7F264593
	v_mov_b32_e32 v148, 0x358637bd                             // 00000000C96C: 7F2802FF 358637BD
	v_max3_f32 v148, |v96|, |v97|, v148                        // 00000000C974: D1D30394 0652C360
	v_max3_f32 v148, |v98|, |v99|, v148                        // 00000000C97C: D1D30394 0652C762
	v_max3_f32 v148, |v128|, |v129|, v148                      // 00000000C984: D1D30394 06530380
	v_max3_f32 v148, |v130|, |v131|, v148                      // 00000000C98C: D1D30394 06530782
	ds_write_b32 v152, v148                                    // 00000000C994: D81A0000 00009498
	s_waitcnt lgkmcnt(0)                                       // 00000000C99C: BF8CC07F
	s_barrier                                                  // 00000000C9A0: BF8A0000
	ds_read_b32 v4, v153                                       // 00000000C9A4: D86C0000 04000099
	ds_read_b32 v5, v153 offset:64                             // 00000000C9AC: D86C0040 05000099
	ds_read_b32 v6, v153 offset:128                            // 00000000C9B4: D86C0080 06000099
	ds_read_b32 v7, v153 offset:192                            // 00000000C9BC: D86C00C0 07000099
	ds_read_b32 v8, v153 offset:256                            // 00000000C9C4: D86C0100 08000099
	ds_read_b32 v9, v153 offset:320                            // 00000000C9CC: D86C0140 09000099
	ds_read_b32 v10, v153 offset:384                           // 00000000C9D4: D86C0180 0A000099
	ds_read_b32 v11, v153 offset:448                           // 00000000C9DC: D86C01C0 0B000099
	ds_read_b32 v12, v153 offset:512                           // 00000000C9E4: D86C0200 0C000099
	ds_read_b32 v13, v153 offset:576                           // 00000000C9EC: D86C0240 0D000099
	ds_read_b32 v14, v153 offset:640                           // 00000000C9F4: D86C0280 0E000099
	ds_read_b32 v15, v153 offset:704                           // 00000000C9FC: D86C02C0 0F000099
	ds_read_b32 v16, v153 offset:768                           // 00000000CA04: D86C0300 10000099
	ds_read_b32 v17, v153 offset:832                           // 00000000CA0C: D86C0340 11000099
	ds_read_b32 v18, v153 offset:896                           // 00000000CA14: D86C0380 12000099
	ds_read_b32 v19, v153 offset:960                           // 00000000CA1C: D86C03C0 13000099
	s_waitcnt lgkmcnt(0)                                       // 00000000CA24: BF8CC07F
	s_barrier                                                  // 00000000CA28: BF8A0000
	v_max3_f32 v148, |v4|, |v5|, v148                          // 00000000CA2C: D1D30394 06520B04
	v_max3_f32 v148, |v6|, |v7|, v148                          // 00000000CA34: D1D30394 06520F06
	v_max3_f32 v148, |v8|, |v9|, v148                          // 00000000CA3C: D1D30394 06521308
	v_max3_f32 v148, |v10|, |v11|, v148                        // 00000000CA44: D1D30394 0652170A
	v_max3_f32 v148, |v12|, |v13|, v148                        // 00000000CA4C: D1D30394 06521B0C
	v_max3_f32 v148, |v14|, |v15|, v148                        // 00000000CA54: D1D30394 06521F0E
	v_max3_f32 v148, |v16|, |v17|, v148                        // 00000000CA5C: D1D30394 06522310
	v_max3_f32 v148, |v18|, |v19|, v148                        // 00000000CA64: D1D30394 06522712
	v_rcp_f32_e32 v148, v148                                   // 00000000CA6C: 7F284594
	v_mov_b32_e32 v4, 0x43700000                               // 00000000CA70: 7E0802FF 43700000
	v_mul_f32_e32 v148, v4, v148                               // 00000000CA78: 0B292904
	v_mov_b32_e32 v4, v148                                     // 00000000CA7C: 7E080394
	v_mov_b32_e32 v5, v4                                       // 00000000CA80: 7E0A0304
	v_pk_mul_f32 v[96:97], v[4:5], v[96:97]                    // 00000000CA84: D3B14060 1802C104
	v_pk_mul_f32 v[98:99], v[4:5], v[98:99]                    // 00000000CA8C: D3B14062 1802C504
	v_cvt_pk_fp8_f32 v96, v96, v97                             // 00000000CA94: D2A20060 0002C360
	v_cvt_pk_fp8_f32 v96, v98, v99 op_sel:[0,0,1]              // 00000000CA9C: D2A24060 0002C762
	v_pk_mul_f32 v[128:129], v[4:5], v[128:129]                // 00000000CAA4: D3B14080 18030104
	v_pk_mul_f32 v[130:131], v[4:5], v[130:131]                // 00000000CAAC: D3B14082 18030504
	v_cvt_pk_fp8_f32 v128, v128, v129                          // 00000000CAB4: D2A20080 00030380
	v_cvt_pk_fp8_f32 v128, v130, v131 op_sel:[0,0,1]           // 00000000CABC: D2A24080 00030782
	v_rcp_f32_e32 v148, v148                                   // 00000000CAC4: 7F284594
	v_mov_b32_e32 v149, 0x358637bd                             // 00000000CAC8: 7F2A02FF 358637BD
	v_max3_f32 v149, |v100|, |v101|, v149                      // 00000000CAD0: D1D30395 0656CB64
	v_max3_f32 v149, |v102|, |v103|, v149                      // 00000000CAD8: D1D30395 0656CF66
	v_max3_f32 v149, |v132|, |v133|, v149                      // 00000000CAE0: D1D30395 06570B84
	v_max3_f32 v149, |v134|, |v135|, v149                      // 00000000CAE8: D1D30395 06570F86
	ds_write_b32 v152, v149                                    // 00000000CAF0: D81A0000 00009598
	s_waitcnt lgkmcnt(0)                                       // 00000000CAF8: BF8CC07F
	s_barrier                                                  // 00000000CAFC: BF8A0000
	ds_read_b32 v4, v153                                       // 00000000CB00: D86C0000 04000099
	ds_read_b32 v5, v153 offset:64                             // 00000000CB08: D86C0040 05000099
	ds_read_b32 v6, v153 offset:128                            // 00000000CB10: D86C0080 06000099
	ds_read_b32 v7, v153 offset:192                            // 00000000CB18: D86C00C0 07000099
	ds_read_b32 v8, v153 offset:256                            // 00000000CB20: D86C0100 08000099
	ds_read_b32 v9, v153 offset:320                            // 00000000CB28: D86C0140 09000099
	ds_read_b32 v10, v153 offset:384                           // 00000000CB30: D86C0180 0A000099
	ds_read_b32 v11, v153 offset:448                           // 00000000CB38: D86C01C0 0B000099
	ds_read_b32 v12, v153 offset:512                           // 00000000CB40: D86C0200 0C000099
	ds_read_b32 v13, v153 offset:576                           // 00000000CB48: D86C0240 0D000099
	ds_read_b32 v14, v153 offset:640                           // 00000000CB50: D86C0280 0E000099
	ds_read_b32 v15, v153 offset:704                           // 00000000CB58: D86C02C0 0F000099
	ds_read_b32 v16, v153 offset:768                           // 00000000CB60: D86C0300 10000099
	ds_read_b32 v17, v153 offset:832                           // 00000000CB68: D86C0340 11000099
	ds_read_b32 v18, v153 offset:896                           // 00000000CB70: D86C0380 12000099
	ds_read_b32 v19, v153 offset:960                           // 00000000CB78: D86C03C0 13000099
	s_waitcnt lgkmcnt(0)                                       // 00000000CB80: BF8CC07F
	s_barrier                                                  // 00000000CB84: BF8A0000
	v_max3_f32 v149, |v4|, |v5|, v149                          // 00000000CB88: D1D30395 06560B04
	v_max3_f32 v149, |v6|, |v7|, v149                          // 00000000CB90: D1D30395 06560F06
	v_max3_f32 v149, |v8|, |v9|, v149                          // 00000000CB98: D1D30395 06561308
	v_max3_f32 v149, |v10|, |v11|, v149                        // 00000000CBA0: D1D30395 0656170A
	v_max3_f32 v149, |v12|, |v13|, v149                        // 00000000CBA8: D1D30395 06561B0C
	v_max3_f32 v149, |v14|, |v15|, v149                        // 00000000CBB0: D1D30395 06561F0E
	v_max3_f32 v149, |v16|, |v17|, v149                        // 00000000CBB8: D1D30395 06562310
	v_max3_f32 v149, |v18|, |v19|, v149                        // 00000000CBC0: D1D30395 06562712
	v_rcp_f32_e32 v149, v149                                   // 00000000CBC8: 7F2A4595
	v_mov_b32_e32 v4, 0x43700000                               // 00000000CBCC: 7E0802FF 43700000
	v_mul_f32_e32 v149, v4, v149                               // 00000000CBD4: 0B2B2B04
	v_mov_b32_e32 v4, v149                                     // 00000000CBD8: 7E080395
	v_mov_b32_e32 v5, v4                                       // 00000000CBDC: 7E0A0304
	v_pk_mul_f32 v[100:101], v[4:5], v[100:101]                // 00000000CBE0: D3B14064 1802C904
	v_pk_mul_f32 v[102:103], v[4:5], v[102:103]                // 00000000CBE8: D3B14066 1802CD04
	v_cvt_pk_fp8_f32 v100, v100, v101                          // 00000000CBF0: D2A20064 0002CB64
	v_cvt_pk_fp8_f32 v100, v102, v103 op_sel:[0,0,1]           // 00000000CBF8: D2A24064 0002CF66
	v_pk_mul_f32 v[132:133], v[4:5], v[132:133]                // 00000000CC00: D3B14084 18030904
	v_pk_mul_f32 v[134:135], v[4:5], v[134:135]                // 00000000CC08: D3B14086 18030D04
	v_cvt_pk_fp8_f32 v132, v132, v133                          // 00000000CC10: D2A20084 00030B84
	v_cvt_pk_fp8_f32 v132, v134, v135 op_sel:[0,0,1]           // 00000000CC18: D2A24084 00030F86
	v_rcp_f32_e32 v149, v149                                   // 00000000CC20: 7F2A4595
	v_mov_b32_e32 v150, 0x358637bd                             // 00000000CC24: 7F2C02FF 358637BD
	v_max3_f32 v150, |v104|, |v105|, v150                      // 00000000CC2C: D1D30396 065AD368
	v_max3_f32 v150, |v106|, |v107|, v150                      // 00000000CC34: D1D30396 065AD76A
	v_max3_f32 v150, |v136|, |v137|, v150                      // 00000000CC3C: D1D30396 065B1388
	v_max3_f32 v150, |v138|, |v139|, v150                      // 00000000CC44: D1D30396 065B178A
	ds_write_b32 v152, v150                                    // 00000000CC4C: D81A0000 00009698
	s_waitcnt lgkmcnt(0)                                       // 00000000CC54: BF8CC07F
	s_barrier                                                  // 00000000CC58: BF8A0000
	ds_read_b32 v4, v153                                       // 00000000CC5C: D86C0000 04000099
	ds_read_b32 v5, v153 offset:64                             // 00000000CC64: D86C0040 05000099
	ds_read_b32 v6, v153 offset:128                            // 00000000CC6C: D86C0080 06000099
	ds_read_b32 v7, v153 offset:192                            // 00000000CC74: D86C00C0 07000099
	ds_read_b32 v8, v153 offset:256                            // 00000000CC7C: D86C0100 08000099
	ds_read_b32 v9, v153 offset:320                            // 00000000CC84: D86C0140 09000099
	ds_read_b32 v10, v153 offset:384                           // 00000000CC8C: D86C0180 0A000099
	ds_read_b32 v11, v153 offset:448                           // 00000000CC94: D86C01C0 0B000099
	ds_read_b32 v12, v153 offset:512                           // 00000000CC9C: D86C0200 0C000099
	ds_read_b32 v13, v153 offset:576                           // 00000000CCA4: D86C0240 0D000099
	ds_read_b32 v14, v153 offset:640                           // 00000000CCAC: D86C0280 0E000099
	ds_read_b32 v15, v153 offset:704                           // 00000000CCB4: D86C02C0 0F000099
	ds_read_b32 v16, v153 offset:768                           // 00000000CCBC: D86C0300 10000099
	ds_read_b32 v17, v153 offset:832                           // 00000000CCC4: D86C0340 11000099
	ds_read_b32 v18, v153 offset:896                           // 00000000CCCC: D86C0380 12000099
	ds_read_b32 v19, v153 offset:960                           // 00000000CCD4: D86C03C0 13000099
	s_waitcnt lgkmcnt(0)                                       // 00000000CCDC: BF8CC07F
	s_barrier                                                  // 00000000CCE0: BF8A0000
	v_max3_f32 v150, |v4|, |v5|, v150                          // 00000000CCE4: D1D30396 065A0B04
	v_max3_f32 v150, |v6|, |v7|, v150                          // 00000000CCEC: D1D30396 065A0F06
	v_max3_f32 v150, |v8|, |v9|, v150                          // 00000000CCF4: D1D30396 065A1308
	v_max3_f32 v150, |v10|, |v11|, v150                        // 00000000CCFC: D1D30396 065A170A
	v_max3_f32 v150, |v12|, |v13|, v150                        // 00000000CD04: D1D30396 065A1B0C
	v_max3_f32 v150, |v14|, |v15|, v150                        // 00000000CD0C: D1D30396 065A1F0E
	v_max3_f32 v150, |v16|, |v17|, v150                        // 00000000CD14: D1D30396 065A2310
	v_max3_f32 v150, |v18|, |v19|, v150                        // 00000000CD1C: D1D30396 065A2712
	v_rcp_f32_e32 v150, v150                                   // 00000000CD24: 7F2C4596
	v_mov_b32_e32 v4, 0x43700000                               // 00000000CD28: 7E0802FF 43700000
	v_mul_f32_e32 v150, v4, v150                               // 00000000CD30: 0B2D2D04
	v_mov_b32_e32 v4, v150                                     // 00000000CD34: 7E080396
	v_mov_b32_e32 v5, v4                                       // 00000000CD38: 7E0A0304
	v_pk_mul_f32 v[104:105], v[4:5], v[104:105]                // 00000000CD3C: D3B14068 1802D104
	v_pk_mul_f32 v[106:107], v[4:5], v[106:107]                // 00000000CD44: D3B1406A 1802D504
	v_cvt_pk_fp8_f32 v104, v104, v105                          // 00000000CD4C: D2A20068 0002D368
	v_cvt_pk_fp8_f32 v104, v106, v107 op_sel:[0,0,1]           // 00000000CD54: D2A24068 0002D76A
	v_pk_mul_f32 v[136:137], v[4:5], v[136:137]                // 00000000CD5C: D3B14088 18031104
	v_pk_mul_f32 v[138:139], v[4:5], v[138:139]                // 00000000CD64: D3B1408A 18031504
	v_cvt_pk_fp8_f32 v136, v136, v137                          // 00000000CD6C: D2A20088 00031388
	v_cvt_pk_fp8_f32 v136, v138, v139 op_sel:[0,0,1]           // 00000000CD74: D2A24088 0003178A
	v_rcp_f32_e32 v150, v150                                   // 00000000CD7C: 7F2C4596
	v_mov_b32_e32 v151, 0x358637bd                             // 00000000CD80: 7F2E02FF 358637BD
	v_max3_f32 v151, |v108|, |v109|, v151                      // 00000000CD88: D1D30397 065EDB6C
	v_max3_f32 v151, |v110|, |v111|, v151                      // 00000000CD90: D1D30397 065EDF6E
	v_max3_f32 v151, |v140|, |v141|, v151                      // 00000000CD98: D1D30397 065F1B8C
	v_max3_f32 v151, |v142|, |v143|, v151                      // 00000000CDA0: D1D30397 065F1F8E
	ds_write_b32 v152, v151                                    // 00000000CDA8: D81A0000 00009798
	s_waitcnt lgkmcnt(0)                                       // 00000000CDB0: BF8CC07F
	s_barrier                                                  // 00000000CDB4: BF8A0000
	ds_read_b32 v4, v153                                       // 00000000CDB8: D86C0000 04000099
	ds_read_b32 v5, v153 offset:64                             // 00000000CDC0: D86C0040 05000099
	ds_read_b32 v6, v153 offset:128                            // 00000000CDC8: D86C0080 06000099
	ds_read_b32 v7, v153 offset:192                            // 00000000CDD0: D86C00C0 07000099
	ds_read_b32 v8, v153 offset:256                            // 00000000CDD8: D86C0100 08000099
	ds_read_b32 v9, v153 offset:320                            // 00000000CDE0: D86C0140 09000099
	ds_read_b32 v10, v153 offset:384                           // 00000000CDE8: D86C0180 0A000099
	ds_read_b32 v11, v153 offset:448                           // 00000000CDF0: D86C01C0 0B000099
	ds_read_b32 v12, v153 offset:512                           // 00000000CDF8: D86C0200 0C000099
	ds_read_b32 v13, v153 offset:576                           // 00000000CE00: D86C0240 0D000099
	ds_read_b32 v14, v153 offset:640                           // 00000000CE08: D86C0280 0E000099
	ds_read_b32 v15, v153 offset:704                           // 00000000CE10: D86C02C0 0F000099
	ds_read_b32 v16, v153 offset:768                           // 00000000CE18: D86C0300 10000099
	ds_read_b32 v17, v153 offset:832                           // 00000000CE20: D86C0340 11000099
	ds_read_b32 v18, v153 offset:896                           // 00000000CE28: D86C0380 12000099
	ds_read_b32 v19, v153 offset:960                           // 00000000CE30: D86C03C0 13000099
	s_waitcnt lgkmcnt(0)                                       // 00000000CE38: BF8CC07F
	s_barrier                                                  // 00000000CE3C: BF8A0000
	v_max3_f32 v151, |v4|, |v5|, v151                          // 00000000CE40: D1D30397 065E0B04
	v_max3_f32 v151, |v6|, |v7|, v151                          // 00000000CE48: D1D30397 065E0F06
	v_max3_f32 v151, |v8|, |v9|, v151                          // 00000000CE50: D1D30397 065E1308
	v_max3_f32 v151, |v10|, |v11|, v151                        // 00000000CE58: D1D30397 065E170A
	v_max3_f32 v151, |v12|, |v13|, v151                        // 00000000CE60: D1D30397 065E1B0C
	v_max3_f32 v151, |v14|, |v15|, v151                        // 00000000CE68: D1D30397 065E1F0E
	v_max3_f32 v151, |v16|, |v17|, v151                        // 00000000CE70: D1D30397 065E2310
	v_max3_f32 v151, |v18|, |v19|, v151                        // 00000000CE78: D1D30397 065E2712
	v_rcp_f32_e32 v151, v151                                   // 00000000CE80: 7F2E4597
	v_mov_b32_e32 v4, 0x43700000                               // 00000000CE84: 7E0802FF 43700000
	v_mul_f32_e32 v151, v4, v151                               // 00000000CE8C: 0B2F2F04
	v_mov_b32_e32 v4, v151                                     // 00000000CE90: 7E080397
	v_mov_b32_e32 v5, v4                                       // 00000000CE94: 7E0A0304
	v_pk_mul_f32 v[108:109], v[4:5], v[108:109]                // 00000000CE98: D3B1406C 1802D904
	v_pk_mul_f32 v[110:111], v[4:5], v[110:111]                // 00000000CEA0: D3B1406E 1802DD04
	v_cvt_pk_fp8_f32 v108, v108, v109                          // 00000000CEA8: D2A2006C 0002DB6C
	v_cvt_pk_fp8_f32 v108, v110, v111 op_sel:[0,0,1]           // 00000000CEB0: D2A2406C 0002DF6E
	v_pk_mul_f32 v[140:141], v[4:5], v[140:141]                // 00000000CEB8: D3B1408C 18031904
	v_pk_mul_f32 v[142:143], v[4:5], v[142:143]                // 00000000CEC0: D3B1408E 18031D04
	v_cvt_pk_fp8_f32 v140, v140, v141                          // 00000000CEC8: D2A2008C 00031B8C
	v_cvt_pk_fp8_f32 v140, v142, v143 op_sel:[0,0,1]           // 00000000CED0: D2A2408C 00031F8E
	v_rcp_f32_e32 v151, v151                                   // 00000000CED8: 7F2E4597
	v_lshrrev_b32_e32 v4, 5, v0                                // 00000000CEDC: 20080085
	v_mul_lo_u32 v20, 34, v4                                   // 00000000CEE0: D2850014 000208A2
	v_and_b32_e32 v4, 31, v0                                   // 00000000CEE8: 2608009F
	v_lshrrev_b32_e32 v5, 4, v4                                // 00000000CEEC: 200A0884
	v_add_u32_e32 v20, v5, v20                                 // 00000000CEF0: 68282905
	v_and_b32_e32 v4, 15, v0                                   // 00000000CEF4: 2608008F
	v_mul_lo_u32 v5, 2, v4                                     // 00000000CEF8: D2850005 00020882
	v_add_u32_e32 v20, v5, v20                                 // 00000000CF00: 68282905
	s_mul_i32 s60, s7, 0x44                                    // 00000000CF04: 923CFF07 00000044
	v_add_u32_e32 v20, s60, v20                                // 00000000CF0C: 6828283C
	v_lshlrev_b32_e32 v20, 2, v20                              // 00000000CF10: 24282882
	ds_write_b32 v20, v80                                      // 00000000CF14: D81A0000 00005014
	ds_write_b32 v20, v84 offset:2176                          // 00000000CF1C: D81A0880 00005414
	ds_write_b32 v20, v88 offset:4352                          // 00000000CF24: D81A1100 00005814
	ds_write_b32 v20, v92 offset:6528                          // 00000000CF2C: D81A1980 00005C14
	ds_write_b32 v20, v96 offset:8704                          // 00000000CF34: D81A2200 00006014
	ds_write_b32 v20, v100 offset:10880                        // 00000000CF3C: D81A2A80 00006414
	ds_write_b32 v20, v104 offset:13056                        // 00000000CF44: D81A3300 00006814
	ds_write_b32 v20, v108 offset:15232                        // 00000000CF4C: D81A3B80 00006C14
	ds_write_b32 v20, v112 offset:1088                         // 00000000CF54: D81A0440 00007014
	ds_write_b32 v20, v116 offset:3264                         // 00000000CF5C: D81A0CC0 00007414
	ds_write_b32 v20, v120 offset:5440                         // 00000000CF64: D81A1540 00007814
	ds_write_b32 v20, v124 offset:7616                         // 00000000CF6C: D81A1DC0 00007C14
	ds_write_b32 v20, v128 offset:9792                         // 00000000CF74: D81A2640 00008014
	ds_write_b32 v20, v132 offset:11968                        // 00000000CF7C: D81A2EC0 00008414
	ds_write_b32 v20, v136 offset:14144                        // 00000000CF84: D81A3740 00008814
	ds_write_b32 v20, v140 offset:16320                        // 00000000CF8C: D81A3FC0 00008C14
	v_lshrrev_b32_e32 v4, 5, v0                                // 00000000CF94: 20080085
	v_xor_b32_e32 v5, 1, v4                                    // 00000000CF98: 2A0A0881
	s_mul_i32 s60, s65, 1                                      // 00000000CF9C: 923C8141
	s_cmp_eq_u32 s88, 0                                        // 00000000CFA0: BF068058
	s_cselect_b32 s61, 1, 8                                    // 00000000CFA4: 853D8881
	s_mul_i32 s60, s61, s60                                    // 00000000CFA8: 923C3C3D
	v_readlane_b32 s82, v3, 0                                  // 00000000CFAC: D2890052 00010103
	s_lshr_b32 s61, s82, 24                                    // 00000000CFB4: 8F3D9852
	s_and_b32 s82, s82, 0xffffff                               // 00000000CFB8: 8652FF52 00FFFFFF
	s_mul_i32 s82, s82, s71                                    // 00000000CFC0: 92524752
	s_mul_i32 s61, s60, s61                                    // 00000000CFC4: 923D3D3C
	s_add_u32 s82, s82, s61                                    // 00000000CFC8: 80523D52
	v_mul_lo_u32 v6, v5, s82                                   // 00000000CFCC: D2850006 0000A505
	v_readlane_b32 s82, v3, 1                                  // 00000000CFD4: D2890052 00010303
	s_lshr_b32 s61, s82, 24                                    // 00000000CFDC: 8F3D9852
	s_and_b32 s82, s82, 0xffffff                               // 00000000CFE0: 8652FF52 00FFFFFF
	s_mul_i32 s82, s82, s71                                    // 00000000CFE8: 92524752
	s_mul_i32 s61, s60, s61                                    // 00000000CFEC: 923D3D3C
	s_add_u32 s82, s82, s61                                    // 00000000CFF0: 80523D52
	v_mul_lo_u32 v7, v4, s82                                   // 00000000CFF4: D2850007 0000A504
	v_add_u32_e32 v60, v6, v7                                  // 00000000CFFC: 68780F06
	v_readlane_b32 s82, v3, 2                                  // 00000000D000: D2890052 00010503
	s_lshr_b32 s61, s82, 24                                    // 00000000D008: 8F3D9852
	s_and_b32 s82, s82, 0xffffff                               // 00000000D00C: 8652FF52 00FFFFFF
	s_mul_i32 s82, s82, s71                                    // 00000000D014: 92524752
	s_mul_i32 s61, s60, s61                                    // 00000000D018: 923D3D3C
	s_add_u32 s82, s82, s61                                    // 00000000D01C: 80523D52
	v_mul_lo_u32 v6, v5, s82                                   // 00000000D020: D2850006 0000A505
	v_readlane_b32 s82, v3, 3                                  // 00000000D028: D2890052 00010703
	s_lshr_b32 s61, s82, 24                                    // 00000000D030: 8F3D9852
	s_and_b32 s82, s82, 0xffffff                               // 00000000D034: 8652FF52 00FFFFFF
	s_mul_i32 s82, s82, s71                                    // 00000000D03C: 92524752
	s_mul_i32 s61, s60, s61                                    // 00000000D040: 923D3D3C
	s_add_u32 s82, s82, s61                                    // 00000000D044: 80523D52
	v_mul_lo_u32 v7, v4, s82                                   // 00000000D048: D2850007 0000A504
	v_add_u32_e32 v61, v6, v7                                  // 00000000D050: 687A0F06
	v_readlane_b32 s82, v3, 4                                  // 00000000D054: D2890052 00010903
	s_lshr_b32 s61, s82, 24                                    // 00000000D05C: 8F3D9852
	s_and_b32 s82, s82, 0xffffff                               // 00000000D060: 8652FF52 00FFFFFF
	s_mul_i32 s82, s82, s71                                    // 00000000D068: 92524752
	s_mul_i32 s61, s60, s61                                    // 00000000D06C: 923D3D3C
	s_add_u32 s82, s82, s61                                    // 00000000D070: 80523D52
	v_mul_lo_u32 v6, v5, s82                                   // 00000000D074: D2850006 0000A505
	v_readlane_b32 s82, v3, 5                                  // 00000000D07C: D2890052 00010B03
	s_lshr_b32 s61, s82, 24                                    // 00000000D084: 8F3D9852
	s_and_b32 s82, s82, 0xffffff                               // 00000000D088: 8652FF52 00FFFFFF
	s_mul_i32 s82, s82, s71                                    // 00000000D090: 92524752
	s_mul_i32 s61, s60, s61                                    // 00000000D094: 923D3D3C
	s_add_u32 s82, s82, s61                                    // 00000000D098: 80523D52
	v_mul_lo_u32 v7, v4, s82                                   // 00000000D09C: D2850007 0000A504
	v_add_u32_e32 v62, v6, v7                                  // 00000000D0A4: 687C0F06
	v_readlane_b32 s82, v3, 6                                  // 00000000D0A8: D2890052 00010D03
	s_lshr_b32 s61, s82, 24                                    // 00000000D0B0: 8F3D9852
	s_and_b32 s82, s82, 0xffffff                               // 00000000D0B4: 8652FF52 00FFFFFF
	s_mul_i32 s82, s82, s71                                    // 00000000D0BC: 92524752
	s_mul_i32 s61, s60, s61                                    // 00000000D0C0: 923D3D3C
	s_add_u32 s82, s82, s61                                    // 00000000D0C4: 80523D52
	v_mul_lo_u32 v6, v5, s82                                   // 00000000D0C8: D2850006 0000A505
	v_readlane_b32 s82, v3, 7                                  // 00000000D0D0: D2890052 00010F03
	s_lshr_b32 s61, s82, 24                                    // 00000000D0D8: 8F3D9852
	s_and_b32 s82, s82, 0xffffff                               // 00000000D0DC: 8652FF52 00FFFFFF
	s_mul_i32 s82, s82, s71                                    // 00000000D0E4: 92524752
	s_mul_i32 s61, s60, s61                                    // 00000000D0E8: 923D3D3C
	s_add_u32 s82, s82, s61                                    // 00000000D0EC: 80523D52
	v_mul_lo_u32 v7, v4, s82                                   // 00000000D0F0: D2850007 0000A504
	v_add_u32_e32 v63, v6, v7                                  // 00000000D0F8: 687E0F06
	v_readlane_b32 s82, v3, 8                                  // 00000000D0FC: D2890052 00011103
	s_lshr_b32 s61, s82, 24                                    // 00000000D104: 8F3D9852
	s_and_b32 s82, s82, 0xffffff                               // 00000000D108: 8652FF52 00FFFFFF
	s_mul_i32 s82, s82, s71                                    // 00000000D110: 92524752
	s_mul_i32 s61, s60, s61                                    // 00000000D114: 923D3D3C
	s_add_u32 s82, s82, s61                                    // 00000000D118: 80523D52
	v_mul_lo_u32 v6, v5, s82                                   // 00000000D11C: D2850006 0000A505
	v_readlane_b32 s82, v3, 9                                  // 00000000D124: D2890052 00011303
	s_lshr_b32 s61, s82, 24                                    // 00000000D12C: 8F3D9852
	s_and_b32 s82, s82, 0xffffff                               // 00000000D130: 8652FF52 00FFFFFF
	s_mul_i32 s82, s82, s71                                    // 00000000D138: 92524752
	s_mul_i32 s61, s60, s61                                    // 00000000D13C: 923D3D3C
	s_add_u32 s82, s82, s61                                    // 00000000D140: 80523D52
	v_mul_lo_u32 v7, v4, s82                                   // 00000000D144: D2850007 0000A504
	v_add_u32_e32 v64, v6, v7                                  // 00000000D14C: 68800F06
	v_readlane_b32 s82, v3, 10                                 // 00000000D150: D2890052 00011503
	s_lshr_b32 s61, s82, 24                                    // 00000000D158: 8F3D9852
	s_and_b32 s82, s82, 0xffffff                               // 00000000D15C: 8652FF52 00FFFFFF
	s_mul_i32 s82, s82, s71                                    // 00000000D164: 92524752
	s_mul_i32 s61, s60, s61                                    // 00000000D168: 923D3D3C
	s_add_u32 s82, s82, s61                                    // 00000000D16C: 80523D52
	v_mul_lo_u32 v6, v5, s82                                   // 00000000D170: D2850006 0000A505
	v_readlane_b32 s82, v3, 11                                 // 00000000D178: D2890052 00011703
	s_lshr_b32 s61, s82, 24                                    // 00000000D180: 8F3D9852
	s_and_b32 s82, s82, 0xffffff                               // 00000000D184: 8652FF52 00FFFFFF
	s_mul_i32 s82, s82, s71                                    // 00000000D18C: 92524752
	s_mul_i32 s61, s60, s61                                    // 00000000D190: 923D3D3C
	s_add_u32 s82, s82, s61                                    // 00000000D194: 80523D52
	v_mul_lo_u32 v7, v4, s82                                   // 00000000D198: D2850007 0000A504
	v_add_u32_e32 v65, v6, v7                                  // 00000000D1A0: 68820F06
	v_readlane_b32 s82, v3, 12                                 // 00000000D1A4: D2890052 00011903
	s_lshr_b32 s61, s82, 24                                    // 00000000D1AC: 8F3D9852
	s_and_b32 s82, s82, 0xffffff                               // 00000000D1B0: 8652FF52 00FFFFFF
	s_mul_i32 s82, s82, s71                                    // 00000000D1B8: 92524752
	s_mul_i32 s61, s60, s61                                    // 00000000D1BC: 923D3D3C
	s_add_u32 s82, s82, s61                                    // 00000000D1C0: 80523D52
	v_mul_lo_u32 v6, v5, s82                                   // 00000000D1C4: D2850006 0000A505
	v_readlane_b32 s82, v3, 13                                 // 00000000D1CC: D2890052 00011B03
	s_lshr_b32 s61, s82, 24                                    // 00000000D1D4: 8F3D9852
	s_and_b32 s82, s82, 0xffffff                               // 00000000D1D8: 8652FF52 00FFFFFF
	s_mul_i32 s82, s82, s71                                    // 00000000D1E0: 92524752
	s_mul_i32 s61, s60, s61                                    // 00000000D1E4: 923D3D3C
	s_add_u32 s82, s82, s61                                    // 00000000D1E8: 80523D52
	v_mul_lo_u32 v7, v4, s82                                   // 00000000D1EC: D2850007 0000A504
	v_add_u32_e32 v66, v6, v7                                  // 00000000D1F4: 68840F06
	v_readlane_b32 s82, v3, 14                                 // 00000000D1F8: D2890052 00011D03
	s_lshr_b32 s61, s82, 24                                    // 00000000D200: 8F3D9852
	s_and_b32 s82, s82, 0xffffff                               // 00000000D204: 8652FF52 00FFFFFF
	s_mul_i32 s82, s82, s71                                    // 00000000D20C: 92524752
	s_mul_i32 s61, s60, s61                                    // 00000000D210: 923D3D3C
	s_add_u32 s82, s82, s61                                    // 00000000D214: 80523D52
	v_mul_lo_u32 v6, v5, s82                                   // 00000000D218: D2850006 0000A505
	v_readlane_b32 s82, v3, 15                                 // 00000000D220: D2890052 00011F03
	s_lshr_b32 s61, s82, 24                                    // 00000000D228: 8F3D9852
	s_and_b32 s82, s82, 0xffffff                               // 00000000D22C: 8652FF52 00FFFFFF
	s_mul_i32 s82, s82, s71                                    // 00000000D234: 92524752
	s_mul_i32 s61, s60, s61                                    // 00000000D238: 923D3D3C
	s_add_u32 s82, s82, s61                                    // 00000000D23C: 80523D52
	v_mul_lo_u32 v7, v4, s82                                   // 00000000D240: D2850007 0000A504
	v_add_u32_e32 v67, v6, v7                                  // 00000000D248: 68860F06
	v_readlane_b32 s82, v3, 16                                 // 00000000D24C: D2890052 00012103
	s_lshr_b32 s61, s82, 24                                    // 00000000D254: 8F3D9852
	s_and_b32 s82, s82, 0xffffff                               // 00000000D258: 8652FF52 00FFFFFF
	s_mul_i32 s82, s82, s71                                    // 00000000D260: 92524752
	s_mul_i32 s61, s60, s61                                    // 00000000D264: 923D3D3C
	s_add_u32 s82, s82, s61                                    // 00000000D268: 80523D52
	v_mul_lo_u32 v6, v5, s82                                   // 00000000D26C: D2850006 0000A505
	v_readlane_b32 s82, v3, 17                                 // 00000000D274: D2890052 00012303
	s_lshr_b32 s61, s82, 24                                    // 00000000D27C: 8F3D9852
	s_and_b32 s82, s82, 0xffffff                               // 00000000D280: 8652FF52 00FFFFFF
	s_mul_i32 s82, s82, s71                                    // 00000000D288: 92524752
	s_mul_i32 s61, s60, s61                                    // 00000000D28C: 923D3D3C
	s_add_u32 s82, s82, s61                                    // 00000000D290: 80523D52
	v_mul_lo_u32 v7, v4, s82                                   // 00000000D294: D2850007 0000A504
	v_add_u32_e32 v68, v6, v7                                  // 00000000D29C: 68880F06
	v_readlane_b32 s82, v3, 18                                 // 00000000D2A0: D2890052 00012503
	s_lshr_b32 s61, s82, 24                                    // 00000000D2A8: 8F3D9852
	s_and_b32 s82, s82, 0xffffff                               // 00000000D2AC: 8652FF52 00FFFFFF
	s_mul_i32 s82, s82, s71                                    // 00000000D2B4: 92524752
	s_mul_i32 s61, s60, s61                                    // 00000000D2B8: 923D3D3C
	s_add_u32 s82, s82, s61                                    // 00000000D2BC: 80523D52
	v_mul_lo_u32 v6, v5, s82                                   // 00000000D2C0: D2850006 0000A505
	v_readlane_b32 s82, v3, 19                                 // 00000000D2C8: D2890052 00012703
	s_lshr_b32 s61, s82, 24                                    // 00000000D2D0: 8F3D9852
	s_and_b32 s82, s82, 0xffffff                               // 00000000D2D4: 8652FF52 00FFFFFF
	s_mul_i32 s82, s82, s71                                    // 00000000D2DC: 92524752
	s_mul_i32 s61, s60, s61                                    // 00000000D2E0: 923D3D3C
	s_add_u32 s82, s82, s61                                    // 00000000D2E4: 80523D52
	v_mul_lo_u32 v7, v4, s82                                   // 00000000D2E8: D2850007 0000A504
	v_add_u32_e32 v69, v6, v7                                  // 00000000D2F0: 688A0F06
	v_readlane_b32 s82, v3, 20                                 // 00000000D2F4: D2890052 00012903
	s_lshr_b32 s61, s82, 24                                    // 00000000D2FC: 8F3D9852
	s_and_b32 s82, s82, 0xffffff                               // 00000000D300: 8652FF52 00FFFFFF
	s_mul_i32 s82, s82, s71                                    // 00000000D308: 92524752
	s_mul_i32 s61, s60, s61                                    // 00000000D30C: 923D3D3C
	s_add_u32 s82, s82, s61                                    // 00000000D310: 80523D52
	v_mul_lo_u32 v6, v5, s82                                   // 00000000D314: D2850006 0000A505
	v_readlane_b32 s82, v3, 21                                 // 00000000D31C: D2890052 00012B03
	s_lshr_b32 s61, s82, 24                                    // 00000000D324: 8F3D9852
	s_and_b32 s82, s82, 0xffffff                               // 00000000D328: 8652FF52 00FFFFFF
	s_mul_i32 s82, s82, s71                                    // 00000000D330: 92524752
	s_mul_i32 s61, s60, s61                                    // 00000000D334: 923D3D3C
	s_add_u32 s82, s82, s61                                    // 00000000D338: 80523D52
	v_mul_lo_u32 v7, v4, s82                                   // 00000000D33C: D2850007 0000A504
	v_add_u32_e32 v70, v6, v7                                  // 00000000D344: 688C0F06
	v_readlane_b32 s82, v3, 22                                 // 00000000D348: D2890052 00012D03
	s_lshr_b32 s61, s82, 24                                    // 00000000D350: 8F3D9852
	s_and_b32 s82, s82, 0xffffff                               // 00000000D354: 8652FF52 00FFFFFF
	s_mul_i32 s82, s82, s71                                    // 00000000D35C: 92524752
	s_mul_i32 s61, s60, s61                                    // 00000000D360: 923D3D3C
	s_add_u32 s82, s82, s61                                    // 00000000D364: 80523D52
	v_mul_lo_u32 v6, v5, s82                                   // 00000000D368: D2850006 0000A505
	v_readlane_b32 s82, v3, 23                                 // 00000000D370: D2890052 00012F03
	s_lshr_b32 s61, s82, 24                                    // 00000000D378: 8F3D9852
	s_and_b32 s82, s82, 0xffffff                               // 00000000D37C: 8652FF52 00FFFFFF
	s_mul_i32 s82, s82, s71                                    // 00000000D384: 92524752
	s_mul_i32 s61, s60, s61                                    // 00000000D388: 923D3D3C
	s_add_u32 s82, s82, s61                                    // 00000000D38C: 80523D52
	v_mul_lo_u32 v7, v4, s82                                   // 00000000D390: D2850007 0000A504
	v_add_u32_e32 v71, v6, v7                                  // 00000000D398: 688E0F06
	v_readlane_b32 s82, v3, 24                                 // 00000000D39C: D2890052 00013103
	s_lshr_b32 s61, s82, 24                                    // 00000000D3A4: 8F3D9852
	s_and_b32 s82, s82, 0xffffff                               // 00000000D3A8: 8652FF52 00FFFFFF
	s_mul_i32 s82, s82, s71                                    // 00000000D3B0: 92524752
	s_mul_i32 s61, s60, s61                                    // 00000000D3B4: 923D3D3C
	s_add_u32 s82, s82, s61                                    // 00000000D3B8: 80523D52
	v_mul_lo_u32 v6, v5, s82                                   // 00000000D3BC: D2850006 0000A505
	v_readlane_b32 s82, v3, 25                                 // 00000000D3C4: D2890052 00013303
	s_lshr_b32 s61, s82, 24                                    // 00000000D3CC: 8F3D9852
	s_and_b32 s82, s82, 0xffffff                               // 00000000D3D0: 8652FF52 00FFFFFF
	s_mul_i32 s82, s82, s71                                    // 00000000D3D8: 92524752
	s_mul_i32 s61, s60, s61                                    // 00000000D3DC: 923D3D3C
	s_add_u32 s82, s82, s61                                    // 00000000D3E0: 80523D52
	v_mul_lo_u32 v7, v4, s82                                   // 00000000D3E4: D2850007 0000A504
	v_add_u32_e32 v72, v6, v7                                  // 00000000D3EC: 68900F06
	v_readlane_b32 s82, v3, 26                                 // 00000000D3F0: D2890052 00013503
	s_lshr_b32 s61, s82, 24                                    // 00000000D3F8: 8F3D9852
	s_and_b32 s82, s82, 0xffffff                               // 00000000D3FC: 8652FF52 00FFFFFF
	s_mul_i32 s82, s82, s71                                    // 00000000D404: 92524752
	s_mul_i32 s61, s60, s61                                    // 00000000D408: 923D3D3C
	s_add_u32 s82, s82, s61                                    // 00000000D40C: 80523D52
	v_mul_lo_u32 v6, v5, s82                                   // 00000000D410: D2850006 0000A505
	v_readlane_b32 s82, v3, 27                                 // 00000000D418: D2890052 00013703
	s_lshr_b32 s61, s82, 24                                    // 00000000D420: 8F3D9852
	s_and_b32 s82, s82, 0xffffff                               // 00000000D424: 8652FF52 00FFFFFF
	s_mul_i32 s82, s82, s71                                    // 00000000D42C: 92524752
	s_mul_i32 s61, s60, s61                                    // 00000000D430: 923D3D3C
	s_add_u32 s82, s82, s61                                    // 00000000D434: 80523D52
	v_mul_lo_u32 v7, v4, s82                                   // 00000000D438: D2850007 0000A504
	v_add_u32_e32 v73, v6, v7                                  // 00000000D440: 68920F06
	v_readlane_b32 s82, v3, 28                                 // 00000000D444: D2890052 00013903
	s_lshr_b32 s61, s82, 24                                    // 00000000D44C: 8F3D9852
	s_and_b32 s82, s82, 0xffffff                               // 00000000D450: 8652FF52 00FFFFFF
	s_mul_i32 s82, s82, s71                                    // 00000000D458: 92524752
	s_mul_i32 s61, s60, s61                                    // 00000000D45C: 923D3D3C
	s_add_u32 s82, s82, s61                                    // 00000000D460: 80523D52
	v_mul_lo_u32 v6, v5, s82                                   // 00000000D464: D2850006 0000A505
	v_readlane_b32 s82, v3, 29                                 // 00000000D46C: D2890052 00013B03
	s_lshr_b32 s61, s82, 24                                    // 00000000D474: 8F3D9852
	s_and_b32 s82, s82, 0xffffff                               // 00000000D478: 8652FF52 00FFFFFF
	s_mul_i32 s82, s82, s71                                    // 00000000D480: 92524752
	s_mul_i32 s61, s60, s61                                    // 00000000D484: 923D3D3C
	s_add_u32 s82, s82, s61                                    // 00000000D488: 80523D52
	v_mul_lo_u32 v7, v4, s82                                   // 00000000D48C: D2850007 0000A504
	v_add_u32_e32 v74, v6, v7                                  // 00000000D494: 68940F06
	v_readlane_b32 s82, v3, 30                                 // 00000000D498: D2890052 00013D03
	s_lshr_b32 s61, s82, 24                                    // 00000000D4A0: 8F3D9852
	s_and_b32 s82, s82, 0xffffff                               // 00000000D4A4: 8652FF52 00FFFFFF
	s_mul_i32 s82, s82, s71                                    // 00000000D4AC: 92524752
	s_mul_i32 s61, s60, s61                                    // 00000000D4B0: 923D3D3C
	s_add_u32 s82, s82, s61                                    // 00000000D4B4: 80523D52
	v_mul_lo_u32 v6, v5, s82                                   // 00000000D4B8: D2850006 0000A505
	v_readlane_b32 s82, v3, 31                                 // 00000000D4C0: D2890052 00013F03
	s_lshr_b32 s61, s82, 24                                    // 00000000D4C8: 8F3D9852
	s_and_b32 s82, s82, 0xffffff                               // 00000000D4CC: 8652FF52 00FFFFFF
	s_mul_i32 s82, s82, s71                                    // 00000000D4D4: 92524752
	s_mul_i32 s61, s60, s61                                    // 00000000D4D8: 923D3D3C
	s_add_u32 s82, s82, s61                                    // 00000000D4DC: 80523D52
	v_mul_lo_u32 v7, v4, s82                                   // 00000000D4E0: D2850007 0000A504
	v_add_u32_e32 v75, v6, v7                                  // 00000000D4E8: 68960F06
	v_and_b32_e32 v4, 31, v0                                   // 00000000D4EC: 2608009F
	v_lshrrev_b32_e32 v4, 1, v4                                // 00000000D4F0: 20080881
	s_cmp_eq_u32 s88, 0                                        // 00000000D4F4: BF068058
	s_cselect_b32 s61, 2, 4                                    // 00000000D4F8: 853D8482
	v_mul_lo_u32 v4, v4, s61                                   // 00000000D4FC: D2850004 00007B04
	v_and_b32_e64 v5, v0, 1                                    // 00000000D504: D1130005 00010300
	v_add_u32_e32 v4, v4, v5                                   // 00000000D50C: 68080B04
	v_lshlrev_b32_e32 v4, 2, v4                                // 00000000D510: 24080882
	v_add_u32_e32 v60, v60, v4                                 // 00000000D514: 6878093C
	v_add_u32_e32 v61, v61, v4                                 // 00000000D518: 687A093D
	v_add_u32_e32 v62, v62, v4                                 // 00000000D51C: 687C093E
	v_add_u32_e32 v63, v63, v4                                 // 00000000D520: 687E093F
	v_add_u32_e32 v64, v64, v4                                 // 00000000D524: 68800940
	v_add_u32_e32 v65, v65, v4                                 // 00000000D528: 68820941
	v_add_u32_e32 v66, v66, v4                                 // 00000000D52C: 68840942
	v_add_u32_e32 v67, v67, v4                                 // 00000000D530: 68860943
	v_add_u32_e32 v68, v68, v4                                 // 00000000D534: 68880944
	v_add_u32_e32 v69, v69, v4                                 // 00000000D538: 688A0945
	v_add_u32_e32 v70, v70, v4                                 // 00000000D53C: 688C0946
	v_add_u32_e32 v71, v71, v4                                 // 00000000D540: 688E0947
	v_add_u32_e32 v72, v72, v4                                 // 00000000D544: 68900948
	v_add_u32_e32 v73, v73, v4                                 // 00000000D548: 68920949
	v_add_u32_e32 v74, v74, v4                                 // 00000000D54C: 6894094A
	v_add_u32_e32 v75, v75, v4                                 // 00000000D550: 6896094B
	s_waitcnt lgkmcnt(0)                                       // 00000000D554: BF8CC07F
	s_barrier                                                  // 00000000D558: BF8A0000
	ds_read_b32 v80, v21                                       // 00000000D55C: D86C0000 50000015
	ds_read_b32 v81, v21 offset:64                             // 00000000D564: D86C0040 51000015
	ds_read_b32 v82, v21 offset:2176                           // 00000000D56C: D86C0880 52000015
	ds_read_b32 v83, v21 offset:2240                           // 00000000D574: D86C08C0 53000015
	ds_read_b32 v84, v21 offset:4352                           // 00000000D57C: D86C1100 54000015
	ds_read_b32 v85, v21 offset:4416                           // 00000000D584: D86C1140 55000015
	ds_read_b32 v86, v21 offset:6528                           // 00000000D58C: D86C1980 56000015
	ds_read_b32 v87, v21 offset:6592                           // 00000000D594: D86C19C0 57000015
	ds_read_b32 v88, v21 offset:8704                           // 00000000D59C: D86C2200 58000015
	ds_read_b32 v89, v21 offset:8768                           // 00000000D5A4: D86C2240 59000015
	ds_read_b32 v90, v21 offset:10880                          // 00000000D5AC: D86C2A80 5A000015
	ds_read_b32 v91, v21 offset:10944                          // 00000000D5B4: D86C2AC0 5B000015
	ds_read_b32 v92, v21 offset:13056                          // 00000000D5BC: D86C3300 5C000015
	ds_read_b32 v93, v21 offset:13120                          // 00000000D5C4: D86C3340 5D000015
	ds_read_b32 v94, v21 offset:15232                          // 00000000D5CC: D86C3B80 5E000015
	ds_read_b32 v95, v21 offset:15296                          // 00000000D5D4: D86C3BC0 5F000015
	s_waitcnt lgkmcnt(0)                                       // 00000000D5DC: BF8CC07F
	s_mov_b32 s36, -1                                          // 00000000D5E0: BEA400C1
	s_mov_b32 s37, -1                                          // 00000000D5E4: BEA500C1
	v_mov_b32_e32 v7, 0                                        // 00000000D5E8: 7E0E0280
	s_or_b32 s9, s9, 0x40000                                   // 00000000D5EC: 8709FF09 00040000
	s_mov_b64 exec, s[36:37]                                   // 00000000D5F4: BEFE0124
	v_mov_b32_e32 v6, v60                                      // 00000000D5F8: 7E0C033C
	s_mov_b64 s[60:61], 0                                      // 00000000D5FC: BEBC0180
	v_readlane_b32 s82, v3, 0                                  // 00000000D600: D2890052 00010103
	s_and_b32 s82, s82, 0xffffff                               // 00000000D608: 8652FF52 00FFFFFF
	s_cmp_lt_u32 s82, s66                                      // 00000000D610: BF0A4252
	s_cselect_b32 s20, s36, s60                                // 00000000D614: 85143C24
	v_readlane_b32 s82, v3, 1                                  // 00000000D618: D2890052 00010303
	s_and_b32 s82, s82, 0xffffff                               // 00000000D620: 8652FF52 00FFFFFF
	s_cmp_lt_u32 s82, s66                                      // 00000000D628: BF0A4252
	s_cselect_b32 s21, s36, s60                                // 00000000D62C: 85153C24
	s_mov_b64 exec, s[20:21]                                   // 00000000D630: BEFE0114
	buffer_store_dword v80, v6, s[8:11], 0 offen               // 00000000D634: E0701000 80025006
	s_mov_b64 exec, s[36:37]                                   // 00000000D63C: BEFE0124
	v_mov_b32_e32 v6, v61                                      // 00000000D640: 7E0C033D
	s_mov_b64 s[60:61], 0                                      // 00000000D644: BEBC0180
	v_readlane_b32 s82, v3, 2                                  // 00000000D648: D2890052 00010503
	s_and_b32 s82, s82, 0xffffff                               // 00000000D650: 8652FF52 00FFFFFF
	s_cmp_lt_u32 s82, s66                                      // 00000000D658: BF0A4252
	s_cselect_b32 s20, s36, s60                                // 00000000D65C: 85143C24
	v_readlane_b32 s82, v3, 3                                  // 00000000D660: D2890052 00010703
	s_and_b32 s82, s82, 0xffffff                               // 00000000D668: 8652FF52 00FFFFFF
	s_cmp_lt_u32 s82, s66                                      // 00000000D670: BF0A4252
	s_cselect_b32 s21, s36, s60                                // 00000000D674: 85153C24
	s_mov_b64 exec, s[20:21]                                   // 00000000D678: BEFE0114
	buffer_store_dword v81, v6, s[8:11], 0 offen               // 00000000D67C: E0701000 80025106
	s_mov_b64 exec, s[36:37]                                   // 00000000D684: BEFE0124
	v_mov_b32_e32 v6, v62                                      // 00000000D688: 7E0C033E
	s_mov_b64 s[60:61], 0                                      // 00000000D68C: BEBC0180
	v_readlane_b32 s82, v3, 4                                  // 00000000D690: D2890052 00010903
	s_and_b32 s82, s82, 0xffffff                               // 00000000D698: 8652FF52 00FFFFFF
	s_cmp_lt_u32 s82, s66                                      // 00000000D6A0: BF0A4252
	s_cselect_b32 s20, s36, s60                                // 00000000D6A4: 85143C24
	v_readlane_b32 s82, v3, 5                                  // 00000000D6A8: D2890052 00010B03
	s_and_b32 s82, s82, 0xffffff                               // 00000000D6B0: 8652FF52 00FFFFFF
	s_cmp_lt_u32 s82, s66                                      // 00000000D6B8: BF0A4252
	s_cselect_b32 s21, s36, s60                                // 00000000D6BC: 85153C24
	s_mov_b64 exec, s[20:21]                                   // 00000000D6C0: BEFE0114
	buffer_store_dword v82, v6, s[8:11], 0 offen               // 00000000D6C4: E0701000 80025206
	s_mov_b64 exec, s[36:37]                                   // 00000000D6CC: BEFE0124
	v_mov_b32_e32 v6, v63                                      // 00000000D6D0: 7E0C033F
	s_mov_b64 s[60:61], 0                                      // 00000000D6D4: BEBC0180
	v_readlane_b32 s82, v3, 6                                  // 00000000D6D8: D2890052 00010D03
	s_and_b32 s82, s82, 0xffffff                               // 00000000D6E0: 8652FF52 00FFFFFF
	s_cmp_lt_u32 s82, s66                                      // 00000000D6E8: BF0A4252
	s_cselect_b32 s20, s36, s60                                // 00000000D6EC: 85143C24
	v_readlane_b32 s82, v3, 7                                  // 00000000D6F0: D2890052 00010F03
	s_and_b32 s82, s82, 0xffffff                               // 00000000D6F8: 8652FF52 00FFFFFF
	s_cmp_lt_u32 s82, s66                                      // 00000000D700: BF0A4252
	s_cselect_b32 s21, s36, s60                                // 00000000D704: 85153C24
	s_mov_b64 exec, s[20:21]                                   // 00000000D708: BEFE0114
	buffer_store_dword v83, v6, s[8:11], 0 offen               // 00000000D70C: E0701000 80025306
	s_mov_b64 exec, s[36:37]                                   // 00000000D714: BEFE0124
	v_mov_b32_e32 v6, v64                                      // 00000000D718: 7E0C0340
	s_mov_b64 s[60:61], 0                                      // 00000000D71C: BEBC0180
	v_readlane_b32 s82, v3, 8                                  // 00000000D720: D2890052 00011103
	s_and_b32 s82, s82, 0xffffff                               // 00000000D728: 8652FF52 00FFFFFF
	s_cmp_lt_u32 s82, s66                                      // 00000000D730: BF0A4252
	s_cselect_b32 s20, s36, s60                                // 00000000D734: 85143C24
	v_readlane_b32 s82, v3, 9                                  // 00000000D738: D2890052 00011303
	s_and_b32 s82, s82, 0xffffff                               // 00000000D740: 8652FF52 00FFFFFF
	s_cmp_lt_u32 s82, s66                                      // 00000000D748: BF0A4252
	s_cselect_b32 s21, s36, s60                                // 00000000D74C: 85153C24
	s_mov_b64 exec, s[20:21]                                   // 00000000D750: BEFE0114
	buffer_store_dword v84, v6, s[8:11], 0 offen               // 00000000D754: E0701000 80025406
	s_mov_b64 exec, s[36:37]                                   // 00000000D75C: BEFE0124
	v_mov_b32_e32 v6, v65                                      // 00000000D760: 7E0C0341
	s_mov_b64 s[60:61], 0                                      // 00000000D764: BEBC0180
	v_readlane_b32 s82, v3, 10                                 // 00000000D768: D2890052 00011503
	s_and_b32 s82, s82, 0xffffff                               // 00000000D770: 8652FF52 00FFFFFF
	s_cmp_lt_u32 s82, s66                                      // 00000000D778: BF0A4252
	s_cselect_b32 s20, s36, s60                                // 00000000D77C: 85143C24
	v_readlane_b32 s82, v3, 11                                 // 00000000D780: D2890052 00011703
	s_and_b32 s82, s82, 0xffffff                               // 00000000D788: 8652FF52 00FFFFFF
	s_cmp_lt_u32 s82, s66                                      // 00000000D790: BF0A4252
	s_cselect_b32 s21, s36, s60                                // 00000000D794: 85153C24
	s_mov_b64 exec, s[20:21]                                   // 00000000D798: BEFE0114
	buffer_store_dword v85, v6, s[8:11], 0 offen               // 00000000D79C: E0701000 80025506
	s_mov_b64 exec, s[36:37]                                   // 00000000D7A4: BEFE0124
	v_mov_b32_e32 v6, v66                                      // 00000000D7A8: 7E0C0342
	s_mov_b64 s[60:61], 0                                      // 00000000D7AC: BEBC0180
	v_readlane_b32 s82, v3, 12                                 // 00000000D7B0: D2890052 00011903
	s_and_b32 s82, s82, 0xffffff                               // 00000000D7B8: 8652FF52 00FFFFFF
	s_cmp_lt_u32 s82, s66                                      // 00000000D7C0: BF0A4252
	s_cselect_b32 s20, s36, s60                                // 00000000D7C4: 85143C24
	v_readlane_b32 s82, v3, 13                                 // 00000000D7C8: D2890052 00011B03
	s_and_b32 s82, s82, 0xffffff                               // 00000000D7D0: 8652FF52 00FFFFFF
	s_cmp_lt_u32 s82, s66                                      // 00000000D7D8: BF0A4252
	s_cselect_b32 s21, s36, s60                                // 00000000D7DC: 85153C24
	s_mov_b64 exec, s[20:21]                                   // 00000000D7E0: BEFE0114
	buffer_store_dword v86, v6, s[8:11], 0 offen               // 00000000D7E4: E0701000 80025606
	s_mov_b64 exec, s[36:37]                                   // 00000000D7EC: BEFE0124
	v_mov_b32_e32 v6, v67                                      // 00000000D7F0: 7E0C0343
	s_mov_b64 s[60:61], 0                                      // 00000000D7F4: BEBC0180
	v_readlane_b32 s82, v3, 14                                 // 00000000D7F8: D2890052 00011D03
	s_and_b32 s82, s82, 0xffffff                               // 00000000D800: 8652FF52 00FFFFFF
	s_cmp_lt_u32 s82, s66                                      // 00000000D808: BF0A4252
	s_cselect_b32 s20, s36, s60                                // 00000000D80C: 85143C24
	v_readlane_b32 s82, v3, 15                                 // 00000000D810: D2890052 00011F03
	s_and_b32 s82, s82, 0xffffff                               // 00000000D818: 8652FF52 00FFFFFF
	s_cmp_lt_u32 s82, s66                                      // 00000000D820: BF0A4252
	s_cselect_b32 s21, s36, s60                                // 00000000D824: 85153C24
	s_mov_b64 exec, s[20:21]                                   // 00000000D828: BEFE0114
	buffer_store_dword v87, v6, s[8:11], 0 offen               // 00000000D82C: E0701000 80025706
	s_mov_b64 exec, s[36:37]                                   // 00000000D834: BEFE0124
	v_mov_b32_e32 v6, v68                                      // 00000000D838: 7E0C0344
	s_mov_b64 s[60:61], 0                                      // 00000000D83C: BEBC0180
	v_readlane_b32 s82, v3, 16                                 // 00000000D840: D2890052 00012103
	s_and_b32 s82, s82, 0xffffff                               // 00000000D848: 8652FF52 00FFFFFF
	s_cmp_lt_u32 s82, s66                                      // 00000000D850: BF0A4252
	s_cselect_b32 s20, s36, s60                                // 00000000D854: 85143C24
	v_readlane_b32 s82, v3, 17                                 // 00000000D858: D2890052 00012303
	s_and_b32 s82, s82, 0xffffff                               // 00000000D860: 8652FF52 00FFFFFF
	s_cmp_lt_u32 s82, s66                                      // 00000000D868: BF0A4252
	s_cselect_b32 s21, s36, s60                                // 00000000D86C: 85153C24
	s_mov_b64 exec, s[20:21]                                   // 00000000D870: BEFE0114
	buffer_store_dword v88, v6, s[8:11], 0 offen               // 00000000D874: E0701000 80025806
	s_mov_b64 exec, s[36:37]                                   // 00000000D87C: BEFE0124
	v_mov_b32_e32 v6, v69                                      // 00000000D880: 7E0C0345
	s_mov_b64 s[60:61], 0                                      // 00000000D884: BEBC0180
	v_readlane_b32 s82, v3, 18                                 // 00000000D888: D2890052 00012503
	s_and_b32 s82, s82, 0xffffff                               // 00000000D890: 8652FF52 00FFFFFF
	s_cmp_lt_u32 s82, s66                                      // 00000000D898: BF0A4252
	s_cselect_b32 s20, s36, s60                                // 00000000D89C: 85143C24
	v_readlane_b32 s82, v3, 19                                 // 00000000D8A0: D2890052 00012703
	s_and_b32 s82, s82, 0xffffff                               // 00000000D8A8: 8652FF52 00FFFFFF
	s_cmp_lt_u32 s82, s66                                      // 00000000D8B0: BF0A4252
	s_cselect_b32 s21, s36, s60                                // 00000000D8B4: 85153C24
	s_mov_b64 exec, s[20:21]                                   // 00000000D8B8: BEFE0114
	buffer_store_dword v89, v6, s[8:11], 0 offen               // 00000000D8BC: E0701000 80025906
	s_mov_b64 exec, s[36:37]                                   // 00000000D8C4: BEFE0124
	v_mov_b32_e32 v6, v70                                      // 00000000D8C8: 7E0C0346
	s_mov_b64 s[60:61], 0                                      // 00000000D8CC: BEBC0180
	v_readlane_b32 s82, v3, 20                                 // 00000000D8D0: D2890052 00012903
	s_and_b32 s82, s82, 0xffffff                               // 00000000D8D8: 8652FF52 00FFFFFF
	s_cmp_lt_u32 s82, s66                                      // 00000000D8E0: BF0A4252
	s_cselect_b32 s20, s36, s60                                // 00000000D8E4: 85143C24
	v_readlane_b32 s82, v3, 21                                 // 00000000D8E8: D2890052 00012B03
	s_and_b32 s82, s82, 0xffffff                               // 00000000D8F0: 8652FF52 00FFFFFF
	s_cmp_lt_u32 s82, s66                                      // 00000000D8F8: BF0A4252
	s_cselect_b32 s21, s36, s60                                // 00000000D8FC: 85153C24
	s_mov_b64 exec, s[20:21]                                   // 00000000D900: BEFE0114
	buffer_store_dword v90, v6, s[8:11], 0 offen               // 00000000D904: E0701000 80025A06
	s_mov_b64 exec, s[36:37]                                   // 00000000D90C: BEFE0124
	v_mov_b32_e32 v6, v71                                      // 00000000D910: 7E0C0347
	s_mov_b64 s[60:61], 0                                      // 00000000D914: BEBC0180
	v_readlane_b32 s82, v3, 22                                 // 00000000D918: D2890052 00012D03
	s_and_b32 s82, s82, 0xffffff                               // 00000000D920: 8652FF52 00FFFFFF
	s_cmp_lt_u32 s82, s66                                      // 00000000D928: BF0A4252
	s_cselect_b32 s20, s36, s60                                // 00000000D92C: 85143C24
	v_readlane_b32 s82, v3, 23                                 // 00000000D930: D2890052 00012F03
	s_and_b32 s82, s82, 0xffffff                               // 00000000D938: 8652FF52 00FFFFFF
	s_cmp_lt_u32 s82, s66                                      // 00000000D940: BF0A4252
	s_cselect_b32 s21, s36, s60                                // 00000000D944: 85153C24
	s_mov_b64 exec, s[20:21]                                   // 00000000D948: BEFE0114
	buffer_store_dword v91, v6, s[8:11], 0 offen               // 00000000D94C: E0701000 80025B06
	s_mov_b64 exec, s[36:37]                                   // 00000000D954: BEFE0124
	v_mov_b32_e32 v6, v72                                      // 00000000D958: 7E0C0348
	s_mov_b64 s[60:61], 0                                      // 00000000D95C: BEBC0180
	v_readlane_b32 s82, v3, 24                                 // 00000000D960: D2890052 00013103
	s_and_b32 s82, s82, 0xffffff                               // 00000000D968: 8652FF52 00FFFFFF
	s_cmp_lt_u32 s82, s66                                      // 00000000D970: BF0A4252
	s_cselect_b32 s20, s36, s60                                // 00000000D974: 85143C24
	v_readlane_b32 s82, v3, 25                                 // 00000000D978: D2890052 00013303
	s_and_b32 s82, s82, 0xffffff                               // 00000000D980: 8652FF52 00FFFFFF
	s_cmp_lt_u32 s82, s66                                      // 00000000D988: BF0A4252
	s_cselect_b32 s21, s36, s60                                // 00000000D98C: 85153C24
	s_mov_b64 exec, s[20:21]                                   // 00000000D990: BEFE0114
	buffer_store_dword v92, v6, s[8:11], 0 offen               // 00000000D994: E0701000 80025C06
	s_mov_b64 exec, s[36:37]                                   // 00000000D99C: BEFE0124
	v_mov_b32_e32 v6, v73                                      // 00000000D9A0: 7E0C0349
	s_mov_b64 s[60:61], 0                                      // 00000000D9A4: BEBC0180
	v_readlane_b32 s82, v3, 26                                 // 00000000D9A8: D2890052 00013503
	s_and_b32 s82, s82, 0xffffff                               // 00000000D9B0: 8652FF52 00FFFFFF
	s_cmp_lt_u32 s82, s66                                      // 00000000D9B8: BF0A4252
	s_cselect_b32 s20, s36, s60                                // 00000000D9BC: 85143C24
	v_readlane_b32 s82, v3, 27                                 // 00000000D9C0: D2890052 00013703
	s_and_b32 s82, s82, 0xffffff                               // 00000000D9C8: 8652FF52 00FFFFFF
	s_cmp_lt_u32 s82, s66                                      // 00000000D9D0: BF0A4252
	s_cselect_b32 s21, s36, s60                                // 00000000D9D4: 85153C24
	s_mov_b64 exec, s[20:21]                                   // 00000000D9D8: BEFE0114
	buffer_store_dword v93, v6, s[8:11], 0 offen               // 00000000D9DC: E0701000 80025D06
	s_mov_b64 exec, s[36:37]                                   // 00000000D9E4: BEFE0124
	v_mov_b32_e32 v6, v74                                      // 00000000D9E8: 7E0C034A
	s_mov_b64 s[60:61], 0                                      // 00000000D9EC: BEBC0180
	v_readlane_b32 s82, v3, 28                                 // 00000000D9F0: D2890052 00013903
	s_and_b32 s82, s82, 0xffffff                               // 00000000D9F8: 8652FF52 00FFFFFF
	s_cmp_lt_u32 s82, s66                                      // 00000000DA00: BF0A4252
	s_cselect_b32 s20, s36, s60                                // 00000000DA04: 85143C24
	v_readlane_b32 s82, v3, 29                                 // 00000000DA08: D2890052 00013B03
	s_and_b32 s82, s82, 0xffffff                               // 00000000DA10: 8652FF52 00FFFFFF
	s_cmp_lt_u32 s82, s66                                      // 00000000DA18: BF0A4252
	s_cselect_b32 s21, s36, s60                                // 00000000DA1C: 85153C24
	s_mov_b64 exec, s[20:21]                                   // 00000000DA20: BEFE0114
	buffer_store_dword v94, v6, s[8:11], 0 offen               // 00000000DA24: E0701000 80025E06
	s_mov_b64 exec, s[36:37]                                   // 00000000DA2C: BEFE0124
	v_mov_b32_e32 v6, v75                                      // 00000000DA30: 7E0C034B
	s_mov_b64 s[60:61], 0                                      // 00000000DA34: BEBC0180
	v_readlane_b32 s82, v3, 30                                 // 00000000DA38: D2890052 00013D03
	s_and_b32 s82, s82, 0xffffff                               // 00000000DA40: 8652FF52 00FFFFFF
	s_cmp_lt_u32 s82, s66                                      // 00000000DA48: BF0A4252
	s_cselect_b32 s20, s36, s60                                // 00000000DA4C: 85143C24
	v_readlane_b32 s82, v3, 31                                 // 00000000DA50: D2890052 00013F03
	s_and_b32 s82, s82, 0xffffff                               // 00000000DA58: 8652FF52 00FFFFFF
	s_cmp_lt_u32 s82, s66                                      // 00000000DA60: BF0A4252
	s_cselect_b32 s21, s36, s60                                // 00000000DA64: 85153C24
	s_mov_b64 exec, s[20:21]                                   // 00000000DA68: BEFE0114
	buffer_store_dword v95, v6, s[8:11], 0 offen               // 00000000DA6C: E0701000 80025F06
	s_mov_b64 exec, s[36:37]                                   // 00000000DA74: BEFE0124
	s_cmp_eq_u32 s7, 0                                         // 00000000DA78: BF068007
	s_cbranch_scc0 label_3494                                  // 00000000DA7C: BF840871
	s_waitcnt vmcnt(16)                                        // 00000000DA80: BF8C4F70
	s_mov_b32 s8, s90                                          // 00000000DA84: BE88005A
	s_mov_b32 s9, s91                                          // 00000000DA88: BE89005B
	s_mul_i32 s60, s66, s71                                    // 00000000DA8C: 923C4742
	s_add_u32 s8, s60, s8                                      // 00000000DA90: 8008083C
	s_addc_u32 s9, 0, s9                                       // 00000000DA94: 82090980
	s_lshr_b32 s71, s71, 5                                     // 00000000DA98: 8F478547
	s_mul_i32 s60, s66, s71                                    // 00000000DA9C: 923C4742
	s_mov_b32 s10, s60                                         // 00000000DAA0: BE8A003C
	s_lshr_b32 s61, s65, 5                                     // 00000000DAA4: 8F3D8541
	s_mul_i32 s60, s2, 4                                       // 00000000DAA8: 923C8402
	v_lshrrev_b32_e32 v4, 24, v28                              // 00000000DAAC: 20083898
	v_mul_lo_u32 v4, s61, v4                                   // 00000000DAB0: D2850004 0002083D
	v_and_b32_e32 v28, 0xffffff, v28                           // 00000000DAB8: 263838FF 00FFFFFF
	v_mul_lo_u32 v28, s71, v28                                 // 00000000DAC0: D285001C 00023847
	v_add_u32_e32 v28, v4, v28                                 // 00000000DAC8: 68383904
	v_add_u32_e32 v28, s60, v28                                // 00000000DACC: 6838383C
	v_lshrrev_b32_e32 v4, 24, v29                              // 00000000DAD0: 20083A98
	v_mul_lo_u32 v4, s61, v4                                   // 00000000DAD4: D2850004 0002083D
	v_and_b32_e32 v29, 0xffffff, v29                           // 00000000DADC: 263A3AFF 00FFFFFF
	v_mul_lo_u32 v29, s71, v29                                 // 00000000DAE4: D285001D 00023A47
	v_add_u32_e32 v29, v4, v29                                 // 00000000DAEC: 683A3B04
	v_add_u32_e32 v29, s60, v29                                // 00000000DAF0: 683A3A3C
	v_lshrrev_b32_e32 v4, 24, v30                              // 00000000DAF4: 20083C98
	v_mul_lo_u32 v4, s61, v4                                   // 00000000DAF8: D2850004 0002083D
	v_and_b32_e32 v30, 0xffffff, v30                           // 00000000DB00: 263C3CFF 00FFFFFF
	v_mul_lo_u32 v30, s71, v30                                 // 00000000DB08: D285001E 00023C47
	v_add_u32_e32 v30, v4, v30                                 // 00000000DB10: 683C3D04
	v_add_u32_e32 v30, s60, v30                                // 00000000DB14: 683C3C3C
	v_lshrrev_b32_e32 v4, 24, v31                              // 00000000DB18: 20083E98
	v_mul_lo_u32 v4, s61, v4                                   // 00000000DB1C: D2850004 0002083D
	v_and_b32_e32 v31, 0xffffff, v31                           // 00000000DB24: 263E3EFF 00FFFFFF
	v_mul_lo_u32 v31, s71, v31                                 // 00000000DB2C: D285001F 00023E47
	v_add_u32_e32 v31, v4, v31                                 // 00000000DB34: 683E3F04
	v_add_u32_e32 v31, s60, v31                                // 00000000DB38: 683E3E3C
	v_lshrrev_b32_e32 v4, 24, v32                              // 00000000DB3C: 20084098
	v_mul_lo_u32 v4, s61, v4                                   // 00000000DB40: D2850004 0002083D
	v_and_b32_e32 v32, 0xffffff, v32                           // 00000000DB48: 264040FF 00FFFFFF
	v_mul_lo_u32 v32, s71, v32                                 // 00000000DB50: D2850020 00024047
	v_add_u32_e32 v32, v4, v32                                 // 00000000DB58: 68404104
	v_add_u32_e32 v32, s60, v32                                // 00000000DB5C: 6840403C
	v_lshrrev_b32_e32 v4, 24, v33                              // 00000000DB60: 20084298
	v_mul_lo_u32 v4, s61, v4                                   // 00000000DB64: D2850004 0002083D
	v_and_b32_e32 v33, 0xffffff, v33                           // 00000000DB6C: 264242FF 00FFFFFF
	v_mul_lo_u32 v33, s71, v33                                 // 00000000DB74: D2850021 00024247
	v_add_u32_e32 v33, v4, v33                                 // 00000000DB7C: 68424304
	v_add_u32_e32 v33, s60, v33                                // 00000000DB80: 6842423C
	v_lshrrev_b32_e32 v4, 24, v34                              // 00000000DB84: 20084498
	v_mul_lo_u32 v4, s61, v4                                   // 00000000DB88: D2850004 0002083D
	v_and_b32_e32 v34, 0xffffff, v34                           // 00000000DB90: 264444FF 00FFFFFF
	v_mul_lo_u32 v34, s71, v34                                 // 00000000DB98: D2850022 00024447
	v_add_u32_e32 v34, v4, v34                                 // 00000000DBA0: 68444504
	v_add_u32_e32 v34, s60, v34                                // 00000000DBA4: 6844443C
	v_lshrrev_b32_e32 v4, 24, v35                              // 00000000DBA8: 20084698
	v_mul_lo_u32 v4, s61, v4                                   // 00000000DBAC: D2850004 0002083D
	v_and_b32_e32 v35, 0xffffff, v35                           // 00000000DBB4: 264646FF 00FFFFFF
	v_mul_lo_u32 v35, s71, v35                                 // 00000000DBBC: D2850023 00024647
	v_add_u32_e32 v35, v4, v35                                 // 00000000DBC4: 68464704
	v_add_u32_e32 v35, s60, v35                                // 00000000DBC8: 6846463C
	s_mov_b64 exec, 0xffff                                     // 00000000DBCC: BEFE01FF 0000FFFF
	buffer_store_dword v144, v28, s[8:11], 0 offen             // 00000000DBD4: E0701000 8002901C
	buffer_store_dword v145, v29, s[8:11], 0 offen             // 00000000DBDC: E0701000 8002911D
	buffer_store_dword v146, v30, s[8:11], 0 offen             // 00000000DBE4: E0701000 8002921E
	buffer_store_dword v147, v31, s[8:11], 0 offen             // 00000000DBEC: E0701000 8002931F
	buffer_store_dword v148, v32, s[8:11], 0 offen             // 00000000DBF4: E0701000 80029420
	buffer_store_dword v149, v33, s[8:11], 0 offen             // 00000000DBFC: E0701000 80029521
	buffer_store_dword v150, v34, s[8:11], 0 offen             // 00000000DC04: E0701000 80029622
	buffer_store_dword v151, v35, s[8:11], 0 offen             // 00000000DC0C: E0701000 80029723
	s_mov_b64 exec, s[36:37]                                   // 00000000DC14: BEFE0124
	s_branch label_3494                                        // 00000000DC18: BF82080A

000000000000dc1c <label_2C8A>:
	ds_write_b64 v20, v[80:81]                                 // 00000000DC1C: D89A0000 00005014
	ds_write_b64 v20, v[84:85] offset:4352                     // 00000000DC24: D89A1100 00005414
	ds_write_b64 v20, v[88:89] offset:8704                     // 00000000DC2C: D89A2200 00005814
	ds_write_b64 v20, v[92:93] offset:13056                    // 00000000DC34: D89A3300 00005C14
	ds_write_b64 v20, v[96:97] offset:17408                    // 00000000DC3C: D89A4400 00006014
	ds_write_b64 v20, v[100:101] offset:21760                  // 00000000DC44: D89A5500 00006414
	ds_write_b64 v20, v[104:105] offset:26112                  // 00000000DC4C: D89A6600 00006814
	ds_write_b64 v20, v[108:109] offset:30464                  // 00000000DC54: D89A7700 00006C14
	ds_write_b64 v20, v[112:113] offset:2176                   // 00000000DC5C: D89A0880 00007014
	ds_write_b64 v20, v[116:117] offset:6528                   // 00000000DC64: D89A1980 00007414
	ds_write_b64 v20, v[120:121] offset:10880                  // 00000000DC6C: D89A2A80 00007814
	ds_write_b64 v20, v[124:125] offset:15232                  // 00000000DC74: D89A3B80 00007C14
	ds_write_b64 v20, v[128:129] offset:19584                  // 00000000DC7C: D89A4C80 00008014
	ds_write_b64 v20, v[132:133] offset:23936                  // 00000000DC84: D89A5D80 00008414
	ds_write_b64 v20, v[136:137] offset:28288                  // 00000000DC8C: D89A6E80 00008814
	ds_write_b64 v20, v[140:141] offset:32640                  // 00000000DC94: D89A7F80 00008C14
	v_lshrrev_b32_e32 v4, 5, v0                                // 00000000DC9C: 20080085
	v_xor_b32_e32 v5, 1, v4                                    // 00000000DCA0: 2A0A0881
	s_mul_i32 s60, s65, 1                                      // 00000000DCA4: 923C8141
	s_cmp_eq_u32 s88, 0                                        // 00000000DCA8: BF068058
	s_cselect_b32 s61, 1, 8                                    // 00000000DCAC: 853D8881
	s_mul_i32 s60, s61, s60                                    // 00000000DCB0: 923C3C3D
	v_readlane_b32 s82, v3, 0                                  // 00000000DCB4: D2890052 00010103
	s_lshr_b32 s61, s82, 24                                    // 00000000DCBC: 8F3D9852
	s_and_b32 s82, s82, 0xffffff                               // 00000000DCC0: 8652FF52 00FFFFFF
	s_mul_i32 s82, s82, s71                                    // 00000000DCC8: 92524752
	s_mul_i32 s61, s60, s61                                    // 00000000DCCC: 923D3D3C
	s_add_u32 s82, s82, s61                                    // 00000000DCD0: 80523D52
	v_mul_lo_u32 v6, v5, s82                                   // 00000000DCD4: D2850006 0000A505
	v_readlane_b32 s82, v3, 1                                  // 00000000DCDC: D2890052 00010303
	s_lshr_b32 s61, s82, 24                                    // 00000000DCE4: 8F3D9852
	s_and_b32 s82, s82, 0xffffff                               // 00000000DCE8: 8652FF52 00FFFFFF
	s_mul_i32 s82, s82, s71                                    // 00000000DCF0: 92524752
	s_mul_i32 s61, s60, s61                                    // 00000000DCF4: 923D3D3C
	s_add_u32 s82, s82, s61                                    // 00000000DCF8: 80523D52
	v_mul_lo_u32 v7, v4, s82                                   // 00000000DCFC: D2850007 0000A504
	v_add_u32_e32 v60, v6, v7                                  // 00000000DD04: 68780F06
	v_readlane_b32 s82, v3, 2                                  // 00000000DD08: D2890052 00010503
	s_lshr_b32 s61, s82, 24                                    // 00000000DD10: 8F3D9852
	s_and_b32 s82, s82, 0xffffff                               // 00000000DD14: 8652FF52 00FFFFFF
	s_mul_i32 s82, s82, s71                                    // 00000000DD1C: 92524752
	s_mul_i32 s61, s60, s61                                    // 00000000DD20: 923D3D3C
	s_add_u32 s82, s82, s61                                    // 00000000DD24: 80523D52
	v_mul_lo_u32 v6, v5, s82                                   // 00000000DD28: D2850006 0000A505
	v_readlane_b32 s82, v3, 3                                  // 00000000DD30: D2890052 00010703
	s_lshr_b32 s61, s82, 24                                    // 00000000DD38: 8F3D9852
	s_and_b32 s82, s82, 0xffffff                               // 00000000DD3C: 8652FF52 00FFFFFF
	s_mul_i32 s82, s82, s71                                    // 00000000DD44: 92524752
	s_mul_i32 s61, s60, s61                                    // 00000000DD48: 923D3D3C
	s_add_u32 s82, s82, s61                                    // 00000000DD4C: 80523D52
	v_mul_lo_u32 v7, v4, s82                                   // 00000000DD50: D2850007 0000A504
	v_add_u32_e32 v61, v6, v7                                  // 00000000DD58: 687A0F06
	v_readlane_b32 s82, v3, 4                                  // 00000000DD5C: D2890052 00010903
	s_lshr_b32 s61, s82, 24                                    // 00000000DD64: 8F3D9852
	s_and_b32 s82, s82, 0xffffff                               // 00000000DD68: 8652FF52 00FFFFFF
	s_mul_i32 s82, s82, s71                                    // 00000000DD70: 92524752
	s_mul_i32 s61, s60, s61                                    // 00000000DD74: 923D3D3C
	s_add_u32 s82, s82, s61                                    // 00000000DD78: 80523D52
	v_mul_lo_u32 v6, v5, s82                                   // 00000000DD7C: D2850006 0000A505
	v_readlane_b32 s82, v3, 5                                  // 00000000DD84: D2890052 00010B03
	s_lshr_b32 s61, s82, 24                                    // 00000000DD8C: 8F3D9852
	s_and_b32 s82, s82, 0xffffff                               // 00000000DD90: 8652FF52 00FFFFFF
	s_mul_i32 s82, s82, s71                                    // 00000000DD98: 92524752
	s_mul_i32 s61, s60, s61                                    // 00000000DD9C: 923D3D3C
	s_add_u32 s82, s82, s61                                    // 00000000DDA0: 80523D52
	v_mul_lo_u32 v7, v4, s82                                   // 00000000DDA4: D2850007 0000A504
	v_add_u32_e32 v62, v6, v7                                  // 00000000DDAC: 687C0F06
	v_readlane_b32 s82, v3, 6                                  // 00000000DDB0: D2890052 00010D03
	s_lshr_b32 s61, s82, 24                                    // 00000000DDB8: 8F3D9852
	s_and_b32 s82, s82, 0xffffff                               // 00000000DDBC: 8652FF52 00FFFFFF
	s_mul_i32 s82, s82, s71                                    // 00000000DDC4: 92524752
	s_mul_i32 s61, s60, s61                                    // 00000000DDC8: 923D3D3C
	s_add_u32 s82, s82, s61                                    // 00000000DDCC: 80523D52
	v_mul_lo_u32 v6, v5, s82                                   // 00000000DDD0: D2850006 0000A505
	v_readlane_b32 s82, v3, 7                                  // 00000000DDD8: D2890052 00010F03
	s_lshr_b32 s61, s82, 24                                    // 00000000DDE0: 8F3D9852
	s_and_b32 s82, s82, 0xffffff                               // 00000000DDE4: 8652FF52 00FFFFFF
	s_mul_i32 s82, s82, s71                                    // 00000000DDEC: 92524752
	s_mul_i32 s61, s60, s61                                    // 00000000DDF0: 923D3D3C
	s_add_u32 s82, s82, s61                                    // 00000000DDF4: 80523D52
	v_mul_lo_u32 v7, v4, s82                                   // 00000000DDF8: D2850007 0000A504
	v_add_u32_e32 v63, v6, v7                                  // 00000000DE00: 687E0F06
	v_readlane_b32 s82, v3, 8                                  // 00000000DE04: D2890052 00011103
	s_lshr_b32 s61, s82, 24                                    // 00000000DE0C: 8F3D9852
	s_and_b32 s82, s82, 0xffffff                               // 00000000DE10: 8652FF52 00FFFFFF
	s_mul_i32 s82, s82, s71                                    // 00000000DE18: 92524752
	s_mul_i32 s61, s60, s61                                    // 00000000DE1C: 923D3D3C
	s_add_u32 s82, s82, s61                                    // 00000000DE20: 80523D52
	v_mul_lo_u32 v6, v5, s82                                   // 00000000DE24: D2850006 0000A505
	v_readlane_b32 s82, v3, 9                                  // 00000000DE2C: D2890052 00011303
	s_lshr_b32 s61, s82, 24                                    // 00000000DE34: 8F3D9852
	s_and_b32 s82, s82, 0xffffff                               // 00000000DE38: 8652FF52 00FFFFFF
	s_mul_i32 s82, s82, s71                                    // 00000000DE40: 92524752
	s_mul_i32 s61, s60, s61                                    // 00000000DE44: 923D3D3C
	s_add_u32 s82, s82, s61                                    // 00000000DE48: 80523D52
	v_mul_lo_u32 v7, v4, s82                                   // 00000000DE4C: D2850007 0000A504
	v_add_u32_e32 v64, v6, v7                                  // 00000000DE54: 68800F06
	v_readlane_b32 s82, v3, 10                                 // 00000000DE58: D2890052 00011503
	s_lshr_b32 s61, s82, 24                                    // 00000000DE60: 8F3D9852
	s_and_b32 s82, s82, 0xffffff                               // 00000000DE64: 8652FF52 00FFFFFF
	s_mul_i32 s82, s82, s71                                    // 00000000DE6C: 92524752
	s_mul_i32 s61, s60, s61                                    // 00000000DE70: 923D3D3C
	s_add_u32 s82, s82, s61                                    // 00000000DE74: 80523D52
	v_mul_lo_u32 v6, v5, s82                                   // 00000000DE78: D2850006 0000A505
	v_readlane_b32 s82, v3, 11                                 // 00000000DE80: D2890052 00011703
	s_lshr_b32 s61, s82, 24                                    // 00000000DE88: 8F3D9852
	s_and_b32 s82, s82, 0xffffff                               // 00000000DE8C: 8652FF52 00FFFFFF
	s_mul_i32 s82, s82, s71                                    // 00000000DE94: 92524752
	s_mul_i32 s61, s60, s61                                    // 00000000DE98: 923D3D3C
	s_add_u32 s82, s82, s61                                    // 00000000DE9C: 80523D52
	v_mul_lo_u32 v7, v4, s82                                   // 00000000DEA0: D2850007 0000A504
	v_add_u32_e32 v65, v6, v7                                  // 00000000DEA8: 68820F06
	v_readlane_b32 s82, v3, 12                                 // 00000000DEAC: D2890052 00011903
	s_lshr_b32 s61, s82, 24                                    // 00000000DEB4: 8F3D9852
	s_and_b32 s82, s82, 0xffffff                               // 00000000DEB8: 8652FF52 00FFFFFF
	s_mul_i32 s82, s82, s71                                    // 00000000DEC0: 92524752
	s_mul_i32 s61, s60, s61                                    // 00000000DEC4: 923D3D3C
	s_add_u32 s82, s82, s61                                    // 00000000DEC8: 80523D52
	v_mul_lo_u32 v6, v5, s82                                   // 00000000DECC: D2850006 0000A505
	v_readlane_b32 s82, v3, 13                                 // 00000000DED4: D2890052 00011B03
	s_lshr_b32 s61, s82, 24                                    // 00000000DEDC: 8F3D9852
	s_and_b32 s82, s82, 0xffffff                               // 00000000DEE0: 8652FF52 00FFFFFF
	s_mul_i32 s82, s82, s71                                    // 00000000DEE8: 92524752
	s_mul_i32 s61, s60, s61                                    // 00000000DEEC: 923D3D3C
	s_add_u32 s82, s82, s61                                    // 00000000DEF0: 80523D52
	v_mul_lo_u32 v7, v4, s82                                   // 00000000DEF4: D2850007 0000A504
	v_add_u32_e32 v66, v6, v7                                  // 00000000DEFC: 68840F06
	v_readlane_b32 s82, v3, 14                                 // 00000000DF00: D2890052 00011D03
	s_lshr_b32 s61, s82, 24                                    // 00000000DF08: 8F3D9852
	s_and_b32 s82, s82, 0xffffff                               // 00000000DF0C: 8652FF52 00FFFFFF
	s_mul_i32 s82, s82, s71                                    // 00000000DF14: 92524752
	s_mul_i32 s61, s60, s61                                    // 00000000DF18: 923D3D3C
	s_add_u32 s82, s82, s61                                    // 00000000DF1C: 80523D52
	v_mul_lo_u32 v6, v5, s82                                   // 00000000DF20: D2850006 0000A505
	v_readlane_b32 s82, v3, 15                                 // 00000000DF28: D2890052 00011F03
	s_lshr_b32 s61, s82, 24                                    // 00000000DF30: 8F3D9852
	s_and_b32 s82, s82, 0xffffff                               // 00000000DF34: 8652FF52 00FFFFFF
	s_mul_i32 s82, s82, s71                                    // 00000000DF3C: 92524752
	s_mul_i32 s61, s60, s61                                    // 00000000DF40: 923D3D3C
	s_add_u32 s82, s82, s61                                    // 00000000DF44: 80523D52
	v_mul_lo_u32 v7, v4, s82                                   // 00000000DF48: D2850007 0000A504
	v_add_u32_e32 v67, v6, v7                                  // 00000000DF50: 68860F06
	v_readlane_b32 s82, v3, 16                                 // 00000000DF54: D2890052 00012103
	s_lshr_b32 s61, s82, 24                                    // 00000000DF5C: 8F3D9852
	s_and_b32 s82, s82, 0xffffff                               // 00000000DF60: 8652FF52 00FFFFFF
	s_mul_i32 s82, s82, s71                                    // 00000000DF68: 92524752
	s_mul_i32 s61, s60, s61                                    // 00000000DF6C: 923D3D3C
	s_add_u32 s82, s82, s61                                    // 00000000DF70: 80523D52
	v_mul_lo_u32 v6, v5, s82                                   // 00000000DF74: D2850006 0000A505
	v_readlane_b32 s82, v3, 17                                 // 00000000DF7C: D2890052 00012303
	s_lshr_b32 s61, s82, 24                                    // 00000000DF84: 8F3D9852
	s_and_b32 s82, s82, 0xffffff                               // 00000000DF88: 8652FF52 00FFFFFF
	s_mul_i32 s82, s82, s71                                    // 00000000DF90: 92524752
	s_mul_i32 s61, s60, s61                                    // 00000000DF94: 923D3D3C
	s_add_u32 s82, s82, s61                                    // 00000000DF98: 80523D52
	v_mul_lo_u32 v7, v4, s82                                   // 00000000DF9C: D2850007 0000A504
	v_add_u32_e32 v68, v6, v7                                  // 00000000DFA4: 68880F06
	v_readlane_b32 s82, v3, 18                                 // 00000000DFA8: D2890052 00012503
	s_lshr_b32 s61, s82, 24                                    // 00000000DFB0: 8F3D9852
	s_and_b32 s82, s82, 0xffffff                               // 00000000DFB4: 8652FF52 00FFFFFF
	s_mul_i32 s82, s82, s71                                    // 00000000DFBC: 92524752
	s_mul_i32 s61, s60, s61                                    // 00000000DFC0: 923D3D3C
	s_add_u32 s82, s82, s61                                    // 00000000DFC4: 80523D52
	v_mul_lo_u32 v6, v5, s82                                   // 00000000DFC8: D2850006 0000A505
	v_readlane_b32 s82, v3, 19                                 // 00000000DFD0: D2890052 00012703
	s_lshr_b32 s61, s82, 24                                    // 00000000DFD8: 8F3D9852
	s_and_b32 s82, s82, 0xffffff                               // 00000000DFDC: 8652FF52 00FFFFFF
	s_mul_i32 s82, s82, s71                                    // 00000000DFE4: 92524752
	s_mul_i32 s61, s60, s61                                    // 00000000DFE8: 923D3D3C
	s_add_u32 s82, s82, s61                                    // 00000000DFEC: 80523D52
	v_mul_lo_u32 v7, v4, s82                                   // 00000000DFF0: D2850007 0000A504
	v_add_u32_e32 v69, v6, v7                                  // 00000000DFF8: 688A0F06
	v_readlane_b32 s82, v3, 20                                 // 00000000DFFC: D2890052 00012903
	s_lshr_b32 s61, s82, 24                                    // 00000000E004: 8F3D9852
	s_and_b32 s82, s82, 0xffffff                               // 00000000E008: 8652FF52 00FFFFFF
	s_mul_i32 s82, s82, s71                                    // 00000000E010: 92524752
	s_mul_i32 s61, s60, s61                                    // 00000000E014: 923D3D3C
	s_add_u32 s82, s82, s61                                    // 00000000E018: 80523D52
	v_mul_lo_u32 v6, v5, s82                                   // 00000000E01C: D2850006 0000A505
	v_readlane_b32 s82, v3, 21                                 // 00000000E024: D2890052 00012B03
	s_lshr_b32 s61, s82, 24                                    // 00000000E02C: 8F3D9852
	s_and_b32 s82, s82, 0xffffff                               // 00000000E030: 8652FF52 00FFFFFF
	s_mul_i32 s82, s82, s71                                    // 00000000E038: 92524752
	s_mul_i32 s61, s60, s61                                    // 00000000E03C: 923D3D3C
	s_add_u32 s82, s82, s61                                    // 00000000E040: 80523D52
	v_mul_lo_u32 v7, v4, s82                                   // 00000000E044: D2850007 0000A504
	v_add_u32_e32 v70, v6, v7                                  // 00000000E04C: 688C0F06
	v_readlane_b32 s82, v3, 22                                 // 00000000E050: D2890052 00012D03
	s_lshr_b32 s61, s82, 24                                    // 00000000E058: 8F3D9852
	s_and_b32 s82, s82, 0xffffff                               // 00000000E05C: 8652FF52 00FFFFFF
	s_mul_i32 s82, s82, s71                                    // 00000000E064: 92524752
	s_mul_i32 s61, s60, s61                                    // 00000000E068: 923D3D3C
	s_add_u32 s82, s82, s61                                    // 00000000E06C: 80523D52
	v_mul_lo_u32 v6, v5, s82                                   // 00000000E070: D2850006 0000A505
	v_readlane_b32 s82, v3, 23                                 // 00000000E078: D2890052 00012F03
	s_lshr_b32 s61, s82, 24                                    // 00000000E080: 8F3D9852
	s_and_b32 s82, s82, 0xffffff                               // 00000000E084: 8652FF52 00FFFFFF
	s_mul_i32 s82, s82, s71                                    // 00000000E08C: 92524752
	s_mul_i32 s61, s60, s61                                    // 00000000E090: 923D3D3C
	s_add_u32 s82, s82, s61                                    // 00000000E094: 80523D52
	v_mul_lo_u32 v7, v4, s82                                   // 00000000E098: D2850007 0000A504
	v_add_u32_e32 v71, v6, v7                                  // 00000000E0A0: 688E0F06
	v_readlane_b32 s82, v3, 24                                 // 00000000E0A4: D2890052 00013103
	s_lshr_b32 s61, s82, 24                                    // 00000000E0AC: 8F3D9852
	s_and_b32 s82, s82, 0xffffff                               // 00000000E0B0: 8652FF52 00FFFFFF
	s_mul_i32 s82, s82, s71                                    // 00000000E0B8: 92524752
	s_mul_i32 s61, s60, s61                                    // 00000000E0BC: 923D3D3C
	s_add_u32 s82, s82, s61                                    // 00000000E0C0: 80523D52
	v_mul_lo_u32 v6, v5, s82                                   // 00000000E0C4: D2850006 0000A505
	v_readlane_b32 s82, v3, 25                                 // 00000000E0CC: D2890052 00013303
	s_lshr_b32 s61, s82, 24                                    // 00000000E0D4: 8F3D9852
	s_and_b32 s82, s82, 0xffffff                               // 00000000E0D8: 8652FF52 00FFFFFF
	s_mul_i32 s82, s82, s71                                    // 00000000E0E0: 92524752
	s_mul_i32 s61, s60, s61                                    // 00000000E0E4: 923D3D3C
	s_add_u32 s82, s82, s61                                    // 00000000E0E8: 80523D52
	v_mul_lo_u32 v7, v4, s82                                   // 00000000E0EC: D2850007 0000A504
	v_add_u32_e32 v72, v6, v7                                  // 00000000E0F4: 68900F06
	v_readlane_b32 s82, v3, 26                                 // 00000000E0F8: D2890052 00013503
	s_lshr_b32 s61, s82, 24                                    // 00000000E100: 8F3D9852
	s_and_b32 s82, s82, 0xffffff                               // 00000000E104: 8652FF52 00FFFFFF
	s_mul_i32 s82, s82, s71                                    // 00000000E10C: 92524752
	s_mul_i32 s61, s60, s61                                    // 00000000E110: 923D3D3C
	s_add_u32 s82, s82, s61                                    // 00000000E114: 80523D52
	v_mul_lo_u32 v6, v5, s82                                   // 00000000E118: D2850006 0000A505
	v_readlane_b32 s82, v3, 27                                 // 00000000E120: D2890052 00013703
	s_lshr_b32 s61, s82, 24                                    // 00000000E128: 8F3D9852
	s_and_b32 s82, s82, 0xffffff                               // 00000000E12C: 8652FF52 00FFFFFF
	s_mul_i32 s82, s82, s71                                    // 00000000E134: 92524752
	s_mul_i32 s61, s60, s61                                    // 00000000E138: 923D3D3C
	s_add_u32 s82, s82, s61                                    // 00000000E13C: 80523D52
	v_mul_lo_u32 v7, v4, s82                                   // 00000000E140: D2850007 0000A504
	v_add_u32_e32 v73, v6, v7                                  // 00000000E148: 68920F06
	v_readlane_b32 s82, v3, 28                                 // 00000000E14C: D2890052 00013903
	s_lshr_b32 s61, s82, 24                                    // 00000000E154: 8F3D9852
	s_and_b32 s82, s82, 0xffffff                               // 00000000E158: 8652FF52 00FFFFFF
	s_mul_i32 s82, s82, s71                                    // 00000000E160: 92524752
	s_mul_i32 s61, s60, s61                                    // 00000000E164: 923D3D3C
	s_add_u32 s82, s82, s61                                    // 00000000E168: 80523D52
	v_mul_lo_u32 v6, v5, s82                                   // 00000000E16C: D2850006 0000A505
	v_readlane_b32 s82, v3, 29                                 // 00000000E174: D2890052 00013B03
	s_lshr_b32 s61, s82, 24                                    // 00000000E17C: 8F3D9852
	s_and_b32 s82, s82, 0xffffff                               // 00000000E180: 8652FF52 00FFFFFF
	s_mul_i32 s82, s82, s71                                    // 00000000E188: 92524752
	s_mul_i32 s61, s60, s61                                    // 00000000E18C: 923D3D3C
	s_add_u32 s82, s82, s61                                    // 00000000E190: 80523D52
	v_mul_lo_u32 v7, v4, s82                                   // 00000000E194: D2850007 0000A504
	v_add_u32_e32 v74, v6, v7                                  // 00000000E19C: 68940F06
	v_readlane_b32 s82, v3, 30                                 // 00000000E1A0: D2890052 00013D03
	s_lshr_b32 s61, s82, 24                                    // 00000000E1A8: 8F3D9852
	s_and_b32 s82, s82, 0xffffff                               // 00000000E1AC: 8652FF52 00FFFFFF
	s_mul_i32 s82, s82, s71                                    // 00000000E1B4: 92524752
	s_mul_i32 s61, s60, s61                                    // 00000000E1B8: 923D3D3C
	s_add_u32 s82, s82, s61                                    // 00000000E1BC: 80523D52
	v_mul_lo_u32 v6, v5, s82                                   // 00000000E1C0: D2850006 0000A505
	v_readlane_b32 s82, v3, 31                                 // 00000000E1C8: D2890052 00013F03
	s_lshr_b32 s61, s82, 24                                    // 00000000E1D0: 8F3D9852
	s_and_b32 s82, s82, 0xffffff                               // 00000000E1D4: 8652FF52 00FFFFFF
	s_mul_i32 s82, s82, s71                                    // 00000000E1DC: 92524752
	s_mul_i32 s61, s60, s61                                    // 00000000E1E0: 923D3D3C
	s_add_u32 s82, s82, s61                                    // 00000000E1E4: 80523D52
	v_mul_lo_u32 v7, v4, s82                                   // 00000000E1E8: D2850007 0000A504
	v_add_u32_e32 v75, v6, v7                                  // 00000000E1F0: 68960F06
	v_and_b32_e32 v4, 31, v0                                   // 00000000E1F4: 2608009F
	v_lshrrev_b32_e32 v4, 1, v4                                // 00000000E1F8: 20080881
	s_cmp_eq_u32 s88, 0                                        // 00000000E1FC: BF068058
	s_cselect_b32 s61, 2, 4                                    // 00000000E200: 853D8482
	v_mul_lo_u32 v4, v4, s61                                   // 00000000E204: D2850004 00007B04
	v_and_b32_e64 v5, v0, 1                                    // 00000000E20C: D1130005 00010300
	v_add_u32_e32 v4, v4, v5                                   // 00000000E214: 68080B04
	v_lshlrev_b32_e32 v4, 2, v4                                // 00000000E218: 24080882
	v_add_u32_e32 v60, v60, v4                                 // 00000000E21C: 6878093C
	v_add_u32_e32 v61, v61, v4                                 // 00000000E220: 687A093D
	v_add_u32_e32 v62, v62, v4                                 // 00000000E224: 687C093E
	v_add_u32_e32 v63, v63, v4                                 // 00000000E228: 687E093F
	v_add_u32_e32 v64, v64, v4                                 // 00000000E22C: 68800940
	v_add_u32_e32 v65, v65, v4                                 // 00000000E230: 68820941
	v_add_u32_e32 v66, v66, v4                                 // 00000000E234: 68840942
	v_add_u32_e32 v67, v67, v4                                 // 00000000E238: 68860943
	v_add_u32_e32 v68, v68, v4                                 // 00000000E23C: 68880944
	v_add_u32_e32 v69, v69, v4                                 // 00000000E240: 688A0945
	v_add_u32_e32 v70, v70, v4                                 // 00000000E244: 688C0946
	v_add_u32_e32 v71, v71, v4                                 // 00000000E248: 688E0947
	v_add_u32_e32 v72, v72, v4                                 // 00000000E24C: 68900948
	v_add_u32_e32 v73, v73, v4                                 // 00000000E250: 68920949
	v_add_u32_e32 v74, v74, v4                                 // 00000000E254: 6894094A
	v_add_u32_e32 v75, v75, v4                                 // 00000000E258: 6896094B
	s_waitcnt lgkmcnt(0)                                       // 00000000E25C: BF8CC07F
	s_barrier                                                  // 00000000E260: BF8A0000
	ds_read_b32 v80, v21                                       // 00000000E264: D86C0000 50000015
	ds_read_b32 v81, v21 offset:64                             // 00000000E26C: D86C0040 51000015
	ds_read_b32 v84, v21 offset:2176                           // 00000000E274: D86C0880 54000015
	ds_read_b32 v85, v21 offset:2240                           // 00000000E27C: D86C08C0 55000015
	ds_read_b32 v88, v21 offset:4352                           // 00000000E284: D86C1100 58000015
	ds_read_b32 v89, v21 offset:4416                           // 00000000E28C: D86C1140 59000015
	ds_read_b32 v92, v21 offset:6528                           // 00000000E294: D86C1980 5C000015
	ds_read_b32 v93, v21 offset:6592                           // 00000000E29C: D86C19C0 5D000015
	ds_read_b32 v96, v21 offset:8704                           // 00000000E2A4: D86C2200 60000015
	ds_read_b32 v97, v21 offset:8768                           // 00000000E2AC: D86C2240 61000015
	ds_read_b32 v100, v21 offset:10880                         // 00000000E2B4: D86C2A80 64000015
	ds_read_b32 v101, v21 offset:10944                         // 00000000E2BC: D86C2AC0 65000015
	ds_read_b32 v104, v21 offset:13056                         // 00000000E2C4: D86C3300 68000015
	ds_read_b32 v105, v21 offset:13120                         // 00000000E2CC: D86C3340 69000015
	ds_read_b32 v108, v21 offset:15232                         // 00000000E2D4: D86C3B80 6C000015
	ds_read_b32 v109, v21 offset:15296                         // 00000000E2DC: D86C3BC0 6D000015
	ds_read_b32 v112, v21 offset:17408                         // 00000000E2E4: D86C4400 70000015
	ds_read_b32 v113, v21 offset:17472                         // 00000000E2EC: D86C4440 71000015
	ds_read_b32 v116, v21 offset:19584                         // 00000000E2F4: D86C4C80 74000015
	ds_read_b32 v117, v21 offset:19648                         // 00000000E2FC: D86C4CC0 75000015
	ds_read_b32 v120, v21 offset:21760                         // 00000000E304: D86C5500 78000015
	ds_read_b32 v121, v21 offset:21824                         // 00000000E30C: D86C5540 79000015
	ds_read_b32 v124, v21 offset:23936                         // 00000000E314: D86C5D80 7C000015
	ds_read_b32 v125, v21 offset:24000                         // 00000000E31C: D86C5DC0 7D000015
	ds_read_b32 v128, v21 offset:26112                         // 00000000E324: D86C6600 80000015
	ds_read_b32 v129, v21 offset:26176                         // 00000000E32C: D86C6640 81000015
	ds_read_b32 v132, v21 offset:28288                         // 00000000E334: D86C6E80 84000015
	ds_read_b32 v133, v21 offset:28352                         // 00000000E33C: D86C6EC0 85000015
	ds_read_b32 v136, v21 offset:30464                         // 00000000E344: D86C7700 88000015
	ds_read_b32 v137, v21 offset:30528                         // 00000000E34C: D86C7740 89000015
	ds_read_b32 v140, v21 offset:32640                         // 00000000E354: D86C7F80 8C000015
	ds_read_b32 v141, v21 offset:32704                         // 00000000E35C: D86C7FC0 8D000015
	s_waitcnt lgkmcnt(0)                                       // 00000000E364: BF8CC07F
	s_mov_b32 s36, -1                                          // 00000000E368: BEA400C1
	s_mov_b32 s37, -1                                          // 00000000E36C: BEA500C1
	v_mov_b32_e32 v7, 0                                        // 00000000E370: 7E0E0280
	s_mov_b64 exec, s[36:37]                                   // 00000000E374: BEFE0124
	v_mov_b32_e32 v6, v60                                      // 00000000E378: 7E0C033C
	s_mov_b64 s[60:61], 0                                      // 00000000E37C: BEBC0180
	v_readlane_b32 s82, v3, 0                                  // 00000000E380: D2890052 00010103
	s_and_b32 s82, s82, 0xffffff                               // 00000000E388: 8652FF52 00FFFFFF
	s_cmp_lt_u32 s82, s66                                      // 00000000E390: BF0A4252
	s_cselect_b32 s20, s36, s60                                // 00000000E394: 85143C24
	v_readlane_b32 s82, v3, 1                                  // 00000000E398: D2890052 00010303
	s_and_b32 s82, s82, 0xffffff                               // 00000000E3A0: 8652FF52 00FFFFFF
	s_cmp_lt_u32 s82, s66                                      // 00000000E3A8: BF0A4252
	s_cselect_b32 s21, s36, s60                                // 00000000E3AC: 85153C24
	s_mov_b64 exec, s[20:21]                                   // 00000000E3B0: BEFE0114
	global_atomic_add_f32 v6, v80, s[8:9]                      // 00000000E3B4: DD348000 00085006
	global_atomic_add_f32 v6, v84, s[8:9] offset:256           // 00000000E3BC: DD348100 00085406
	s_mov_b64 exec, s[36:37]                                   // 00000000E3C4: BEFE0124
	v_mov_b32_e32 v6, v61                                      // 00000000E3C8: 7E0C033D
	s_mov_b64 s[60:61], 0                                      // 00000000E3CC: BEBC0180
	v_readlane_b32 s82, v3, 2                                  // 00000000E3D0: D2890052 00010503
	s_and_b32 s82, s82, 0xffffff                               // 00000000E3D8: 8652FF52 00FFFFFF
	s_cmp_lt_u32 s82, s66                                      // 00000000E3E0: BF0A4252
	s_cselect_b32 s20, s36, s60                                // 00000000E3E4: 85143C24
	v_readlane_b32 s82, v3, 3                                  // 00000000E3E8: D2890052 00010703
	s_and_b32 s82, s82, 0xffffff                               // 00000000E3F0: 8652FF52 00FFFFFF
	s_cmp_lt_u32 s82, s66                                      // 00000000E3F8: BF0A4252
	s_cselect_b32 s21, s36, s60                                // 00000000E3FC: 85153C24
	s_mov_b64 exec, s[20:21]                                   // 00000000E400: BEFE0114
	global_atomic_add_f32 v6, v81, s[8:9]                      // 00000000E404: DD348000 00085106
	global_atomic_add_f32 v6, v85, s[8:9] offset:256           // 00000000E40C: DD348100 00085506
	s_mov_b64 exec, s[36:37]                                   // 00000000E414: BEFE0124
	v_mov_b32_e32 v6, v62                                      // 00000000E418: 7E0C033E
	s_mov_b64 s[60:61], 0                                      // 00000000E41C: BEBC0180
	v_readlane_b32 s82, v3, 4                                  // 00000000E420: D2890052 00010903
	s_and_b32 s82, s82, 0xffffff                               // 00000000E428: 8652FF52 00FFFFFF
	s_cmp_lt_u32 s82, s66                                      // 00000000E430: BF0A4252
	s_cselect_b32 s20, s36, s60                                // 00000000E434: 85143C24
	v_readlane_b32 s82, v3, 5                                  // 00000000E438: D2890052 00010B03
	s_and_b32 s82, s82, 0xffffff                               // 00000000E440: 8652FF52 00FFFFFF
	s_cmp_lt_u32 s82, s66                                      // 00000000E448: BF0A4252
	s_cselect_b32 s21, s36, s60                                // 00000000E44C: 85153C24
	s_mov_b64 exec, s[20:21]                                   // 00000000E450: BEFE0114
	global_atomic_add_f32 v6, v88, s[8:9]                      // 00000000E454: DD348000 00085806
	global_atomic_add_f32 v6, v92, s[8:9] offset:256           // 00000000E45C: DD348100 00085C06
	s_mov_b64 exec, s[36:37]                                   // 00000000E464: BEFE0124
	v_mov_b32_e32 v6, v63                                      // 00000000E468: 7E0C033F
	s_mov_b64 s[60:61], 0                                      // 00000000E46C: BEBC0180
	v_readlane_b32 s82, v3, 6                                  // 00000000E470: D2890052 00010D03
	s_and_b32 s82, s82, 0xffffff                               // 00000000E478: 8652FF52 00FFFFFF
	s_cmp_lt_u32 s82, s66                                      // 00000000E480: BF0A4252
	s_cselect_b32 s20, s36, s60                                // 00000000E484: 85143C24
	v_readlane_b32 s82, v3, 7                                  // 00000000E488: D2890052 00010F03
	s_and_b32 s82, s82, 0xffffff                               // 00000000E490: 8652FF52 00FFFFFF
	s_cmp_lt_u32 s82, s66                                      // 00000000E498: BF0A4252
	s_cselect_b32 s21, s36, s60                                // 00000000E49C: 85153C24
	s_mov_b64 exec, s[20:21]                                   // 00000000E4A0: BEFE0114
	global_atomic_add_f32 v6, v89, s[8:9]                      // 00000000E4A4: DD348000 00085906
	global_atomic_add_f32 v6, v93, s[8:9] offset:256           // 00000000E4AC: DD348100 00085D06
	s_mov_b64 exec, s[36:37]                                   // 00000000E4B4: BEFE0124
	v_mov_b32_e32 v6, v64                                      // 00000000E4B8: 7E0C0340
	s_mov_b64 s[60:61], 0                                      // 00000000E4BC: BEBC0180
	v_readlane_b32 s82, v3, 8                                  // 00000000E4C0: D2890052 00011103
	s_and_b32 s82, s82, 0xffffff                               // 00000000E4C8: 8652FF52 00FFFFFF
	s_cmp_lt_u32 s82, s66                                      // 00000000E4D0: BF0A4252
	s_cselect_b32 s20, s36, s60                                // 00000000E4D4: 85143C24
	v_readlane_b32 s82, v3, 9                                  // 00000000E4D8: D2890052 00011303
	s_and_b32 s82, s82, 0xffffff                               // 00000000E4E0: 8652FF52 00FFFFFF
	s_cmp_lt_u32 s82, s66                                      // 00000000E4E8: BF0A4252
	s_cselect_b32 s21, s36, s60                                // 00000000E4EC: 85153C24
	s_mov_b64 exec, s[20:21]                                   // 00000000E4F0: BEFE0114
	global_atomic_add_f32 v6, v96, s[8:9]                      // 00000000E4F4: DD348000 00086006
	global_atomic_add_f32 v6, v100, s[8:9] offset:256          // 00000000E4FC: DD348100 00086406
	s_mov_b64 exec, s[36:37]                                   // 00000000E504: BEFE0124
	v_mov_b32_e32 v6, v65                                      // 00000000E508: 7E0C0341
	s_mov_b64 s[60:61], 0                                      // 00000000E50C: BEBC0180
	v_readlane_b32 s82, v3, 10                                 // 00000000E510: D2890052 00011503
	s_and_b32 s82, s82, 0xffffff                               // 00000000E518: 8652FF52 00FFFFFF
	s_cmp_lt_u32 s82, s66                                      // 00000000E520: BF0A4252
	s_cselect_b32 s20, s36, s60                                // 00000000E524: 85143C24
	v_readlane_b32 s82, v3, 11                                 // 00000000E528: D2890052 00011703
	s_and_b32 s82, s82, 0xffffff                               // 00000000E530: 8652FF52 00FFFFFF
	s_cmp_lt_u32 s82, s66                                      // 00000000E538: BF0A4252
	s_cselect_b32 s21, s36, s60                                // 00000000E53C: 85153C24
	s_mov_b64 exec, s[20:21]                                   // 00000000E540: BEFE0114
	global_atomic_add_f32 v6, v97, s[8:9]                      // 00000000E544: DD348000 00086106
	global_atomic_add_f32 v6, v101, s[8:9] offset:256          // 00000000E54C: DD348100 00086506
	s_mov_b64 exec, s[36:37]                                   // 00000000E554: BEFE0124
	v_mov_b32_e32 v6, v66                                      // 00000000E558: 7E0C0342
	s_mov_b64 s[60:61], 0                                      // 00000000E55C: BEBC0180
	v_readlane_b32 s82, v3, 12                                 // 00000000E560: D2890052 00011903
	s_and_b32 s82, s82, 0xffffff                               // 00000000E568: 8652FF52 00FFFFFF
	s_cmp_lt_u32 s82, s66                                      // 00000000E570: BF0A4252
	s_cselect_b32 s20, s36, s60                                // 00000000E574: 85143C24
	v_readlane_b32 s82, v3, 13                                 // 00000000E578: D2890052 00011B03
	s_and_b32 s82, s82, 0xffffff                               // 00000000E580: 8652FF52 00FFFFFF
	s_cmp_lt_u32 s82, s66                                      // 00000000E588: BF0A4252
	s_cselect_b32 s21, s36, s60                                // 00000000E58C: 85153C24
	s_mov_b64 exec, s[20:21]                                   // 00000000E590: BEFE0114
	global_atomic_add_f32 v6, v104, s[8:9]                     // 00000000E594: DD348000 00086806
	global_atomic_add_f32 v6, v108, s[8:9] offset:256          // 00000000E59C: DD348100 00086C06
	s_mov_b64 exec, s[36:37]                                   // 00000000E5A4: BEFE0124
	v_mov_b32_e32 v6, v67                                      // 00000000E5A8: 7E0C0343
	s_mov_b64 s[60:61], 0                                      // 00000000E5AC: BEBC0180
	v_readlane_b32 s82, v3, 14                                 // 00000000E5B0: D2890052 00011D03
	s_and_b32 s82, s82, 0xffffff                               // 00000000E5B8: 8652FF52 00FFFFFF
	s_cmp_lt_u32 s82, s66                                      // 00000000E5C0: BF0A4252
	s_cselect_b32 s20, s36, s60                                // 00000000E5C4: 85143C24
	v_readlane_b32 s82, v3, 15                                 // 00000000E5C8: D2890052 00011F03
	s_and_b32 s82, s82, 0xffffff                               // 00000000E5D0: 8652FF52 00FFFFFF
	s_cmp_lt_u32 s82, s66                                      // 00000000E5D8: BF0A4252
	s_cselect_b32 s21, s36, s60                                // 00000000E5DC: 85153C24
	s_mov_b64 exec, s[20:21]                                   // 00000000E5E0: BEFE0114
	global_atomic_add_f32 v6, v105, s[8:9]                     // 00000000E5E4: DD348000 00086906
	global_atomic_add_f32 v6, v109, s[8:9] offset:256          // 00000000E5EC: DD348100 00086D06
	s_mov_b64 exec, s[36:37]                                   // 00000000E5F4: BEFE0124
	v_mov_b32_e32 v6, v68                                      // 00000000E5F8: 7E0C0344
	s_mov_b64 s[60:61], 0                                      // 00000000E5FC: BEBC0180
	v_readlane_b32 s82, v3, 16                                 // 00000000E600: D2890052 00012103
	s_and_b32 s82, s82, 0xffffff                               // 00000000E608: 8652FF52 00FFFFFF
	s_cmp_lt_u32 s82, s66                                      // 00000000E610: BF0A4252
	s_cselect_b32 s20, s36, s60                                // 00000000E614: 85143C24
	v_readlane_b32 s82, v3, 17                                 // 00000000E618: D2890052 00012303
	s_and_b32 s82, s82, 0xffffff                               // 00000000E620: 8652FF52 00FFFFFF
	s_cmp_lt_u32 s82, s66                                      // 00000000E628: BF0A4252
	s_cselect_b32 s21, s36, s60                                // 00000000E62C: 85153C24
	s_mov_b64 exec, s[20:21]                                   // 00000000E630: BEFE0114
	global_atomic_add_f32 v6, v112, s[8:9]                     // 00000000E634: DD348000 00087006
	global_atomic_add_f32 v6, v116, s[8:9] offset:256          // 00000000E63C: DD348100 00087406
	s_mov_b64 exec, s[36:37]                                   // 00000000E644: BEFE0124
	v_mov_b32_e32 v6, v69                                      // 00000000E648: 7E0C0345
	s_mov_b64 s[60:61], 0                                      // 00000000E64C: BEBC0180
	v_readlane_b32 s82, v3, 18                                 // 00000000E650: D2890052 00012503
	s_and_b32 s82, s82, 0xffffff                               // 00000000E658: 8652FF52 00FFFFFF
	s_cmp_lt_u32 s82, s66                                      // 00000000E660: BF0A4252
	s_cselect_b32 s20, s36, s60                                // 00000000E664: 85143C24
	v_readlane_b32 s82, v3, 19                                 // 00000000E668: D2890052 00012703
	s_and_b32 s82, s82, 0xffffff                               // 00000000E670: 8652FF52 00FFFFFF
	s_cmp_lt_u32 s82, s66                                      // 00000000E678: BF0A4252
	s_cselect_b32 s21, s36, s60                                // 00000000E67C: 85153C24
	s_mov_b64 exec, s[20:21]                                   // 00000000E680: BEFE0114
	global_atomic_add_f32 v6, v113, s[8:9]                     // 00000000E684: DD348000 00087106
	global_atomic_add_f32 v6, v117, s[8:9] offset:256          // 00000000E68C: DD348100 00087506
	s_mov_b64 exec, s[36:37]                                   // 00000000E694: BEFE0124
	v_mov_b32_e32 v6, v70                                      // 00000000E698: 7E0C0346
	s_mov_b64 s[60:61], 0                                      // 00000000E69C: BEBC0180
	v_readlane_b32 s82, v3, 20                                 // 00000000E6A0: D2890052 00012903
	s_and_b32 s82, s82, 0xffffff                               // 00000000E6A8: 8652FF52 00FFFFFF
	s_cmp_lt_u32 s82, s66                                      // 00000000E6B0: BF0A4252
	s_cselect_b32 s20, s36, s60                                // 00000000E6B4: 85143C24
	v_readlane_b32 s82, v3, 21                                 // 00000000E6B8: D2890052 00012B03
	s_and_b32 s82, s82, 0xffffff                               // 00000000E6C0: 8652FF52 00FFFFFF
	s_cmp_lt_u32 s82, s66                                      // 00000000E6C8: BF0A4252
	s_cselect_b32 s21, s36, s60                                // 00000000E6CC: 85153C24
	s_mov_b64 exec, s[20:21]                                   // 00000000E6D0: BEFE0114
	global_atomic_add_f32 v6, v120, s[8:9]                     // 00000000E6D4: DD348000 00087806
	global_atomic_add_f32 v6, v124, s[8:9] offset:256          // 00000000E6DC: DD348100 00087C06
	s_mov_b64 exec, s[36:37]                                   // 00000000E6E4: BEFE0124
	v_mov_b32_e32 v6, v71                                      // 00000000E6E8: 7E0C0347
	s_mov_b64 s[60:61], 0                                      // 00000000E6EC: BEBC0180
	v_readlane_b32 s82, v3, 22                                 // 00000000E6F0: D2890052 00012D03
	s_and_b32 s82, s82, 0xffffff                               // 00000000E6F8: 8652FF52 00FFFFFF
	s_cmp_lt_u32 s82, s66                                      // 00000000E700: BF0A4252
	s_cselect_b32 s20, s36, s60                                // 00000000E704: 85143C24
	v_readlane_b32 s82, v3, 23                                 // 00000000E708: D2890052 00012F03
	s_and_b32 s82, s82, 0xffffff                               // 00000000E710: 8652FF52 00FFFFFF
	s_cmp_lt_u32 s82, s66                                      // 00000000E718: BF0A4252
	s_cselect_b32 s21, s36, s60                                // 00000000E71C: 85153C24
	s_mov_b64 exec, s[20:21]                                   // 00000000E720: BEFE0114
	global_atomic_add_f32 v6, v121, s[8:9]                     // 00000000E724: DD348000 00087906
	global_atomic_add_f32 v6, v125, s[8:9] offset:256          // 00000000E72C: DD348100 00087D06
	s_mov_b64 exec, s[36:37]                                   // 00000000E734: BEFE0124
	v_mov_b32_e32 v6, v72                                      // 00000000E738: 7E0C0348
	s_mov_b64 s[60:61], 0                                      // 00000000E73C: BEBC0180
	v_readlane_b32 s82, v3, 24                                 // 00000000E740: D2890052 00013103
	s_and_b32 s82, s82, 0xffffff                               // 00000000E748: 8652FF52 00FFFFFF
	s_cmp_lt_u32 s82, s66                                      // 00000000E750: BF0A4252
	s_cselect_b32 s20, s36, s60                                // 00000000E754: 85143C24
	v_readlane_b32 s82, v3, 25                                 // 00000000E758: D2890052 00013303
	s_and_b32 s82, s82, 0xffffff                               // 00000000E760: 8652FF52 00FFFFFF
	s_cmp_lt_u32 s82, s66                                      // 00000000E768: BF0A4252
	s_cselect_b32 s21, s36, s60                                // 00000000E76C: 85153C24
	s_mov_b64 exec, s[20:21]                                   // 00000000E770: BEFE0114
	global_atomic_add_f32 v6, v128, s[8:9]                     // 00000000E774: DD348000 00088006
	global_atomic_add_f32 v6, v132, s[8:9] offset:256          // 00000000E77C: DD348100 00088406
	s_mov_b64 exec, s[36:37]                                   // 00000000E784: BEFE0124
	v_mov_b32_e32 v6, v73                                      // 00000000E788: 7E0C0349
	s_mov_b64 s[60:61], 0                                      // 00000000E78C: BEBC0180
	v_readlane_b32 s82, v3, 26                                 // 00000000E790: D2890052 00013503
	s_and_b32 s82, s82, 0xffffff                               // 00000000E798: 8652FF52 00FFFFFF
	s_cmp_lt_u32 s82, s66                                      // 00000000E7A0: BF0A4252
	s_cselect_b32 s20, s36, s60                                // 00000000E7A4: 85143C24
	v_readlane_b32 s82, v3, 27                                 // 00000000E7A8: D2890052 00013703
	s_and_b32 s82, s82, 0xffffff                               // 00000000E7B0: 8652FF52 00FFFFFF
	s_cmp_lt_u32 s82, s66                                      // 00000000E7B8: BF0A4252
	s_cselect_b32 s21, s36, s60                                // 00000000E7BC: 85153C24
	s_mov_b64 exec, s[20:21]                                   // 00000000E7C0: BEFE0114
	global_atomic_add_f32 v6, v129, s[8:9]                     // 00000000E7C4: DD348000 00088106
	global_atomic_add_f32 v6, v133, s[8:9] offset:256          // 00000000E7CC: DD348100 00088506
	s_mov_b64 exec, s[36:37]                                   // 00000000E7D4: BEFE0124
	v_mov_b32_e32 v6, v74                                      // 00000000E7D8: 7E0C034A
	s_mov_b64 s[60:61], 0                                      // 00000000E7DC: BEBC0180
	v_readlane_b32 s82, v3, 28                                 // 00000000E7E0: D2890052 00013903
	s_and_b32 s82, s82, 0xffffff                               // 00000000E7E8: 8652FF52 00FFFFFF
	s_cmp_lt_u32 s82, s66                                      // 00000000E7F0: BF0A4252
	s_cselect_b32 s20, s36, s60                                // 00000000E7F4: 85143C24
	v_readlane_b32 s82, v3, 29                                 // 00000000E7F8: D2890052 00013B03
	s_and_b32 s82, s82, 0xffffff                               // 00000000E800: 8652FF52 00FFFFFF
	s_cmp_lt_u32 s82, s66                                      // 00000000E808: BF0A4252
	s_cselect_b32 s21, s36, s60                                // 00000000E80C: 85153C24
	s_mov_b64 exec, s[20:21]                                   // 00000000E810: BEFE0114
	global_atomic_add_f32 v6, v136, s[8:9]                     // 00000000E814: DD348000 00088806
	global_atomic_add_f32 v6, v140, s[8:9] offset:256          // 00000000E81C: DD348100 00088C06
	s_mov_b64 exec, s[36:37]                                   // 00000000E824: BEFE0124
	v_mov_b32_e32 v6, v75                                      // 00000000E828: 7E0C034B
	s_mov_b64 s[60:61], 0                                      // 00000000E82C: BEBC0180
	v_readlane_b32 s82, v3, 30                                 // 00000000E830: D2890052 00013D03
	s_and_b32 s82, s82, 0xffffff                               // 00000000E838: 8652FF52 00FFFFFF
	s_cmp_lt_u32 s82, s66                                      // 00000000E840: BF0A4252
	s_cselect_b32 s20, s36, s60                                // 00000000E844: 85143C24
	v_readlane_b32 s82, v3, 31                                 // 00000000E848: D2890052 00013F03
	s_and_b32 s82, s82, 0xffffff                               // 00000000E850: 8652FF52 00FFFFFF
	s_cmp_lt_u32 s82, s66                                      // 00000000E858: BF0A4252
	s_cselect_b32 s21, s36, s60                                // 00000000E85C: 85153C24
	s_mov_b64 exec, s[20:21]                                   // 00000000E860: BEFE0114
	global_atomic_add_f32 v6, v137, s[8:9]                     // 00000000E864: DD348000 00088906
	global_atomic_add_f32 v6, v141, s[8:9] offset:256          // 00000000E86C: DD348100 00088D06
	s_mov_b64 exec, s[36:37]                                   // 00000000E874: BEFE0124
	ds_write_b64 v20, v[82:83]                                 // 00000000E878: D89A0000 00005214
	ds_write_b64 v20, v[86:87] offset:4352                     // 00000000E880: D89A1100 00005614
	ds_write_b64 v20, v[90:91] offset:8704                     // 00000000E888: D89A2200 00005A14
	ds_write_b64 v20, v[94:95] offset:13056                    // 00000000E890: D89A3300 00005E14
	ds_write_b64 v20, v[98:99] offset:17408                    // 00000000E898: D89A4400 00006214
	ds_write_b64 v20, v[102:103] offset:21760                  // 00000000E8A0: D89A5500 00006614
	ds_write_b64 v20, v[106:107] offset:26112                  // 00000000E8A8: D89A6600 00006A14
	ds_write_b64 v20, v[110:111] offset:30464                  // 00000000E8B0: D89A7700 00006E14
	ds_write_b64 v20, v[114:115] offset:2176                   // 00000000E8B8: D89A0880 00007214
	ds_write_b64 v20, v[118:119] offset:6528                   // 00000000E8C0: D89A1980 00007614
	ds_write_b64 v20, v[122:123] offset:10880                  // 00000000E8C8: D89A2A80 00007A14
	ds_write_b64 v20, v[126:127] offset:15232                  // 00000000E8D0: D89A3B80 00007E14
	ds_write_b64 v20, v[130:131] offset:19584                  // 00000000E8D8: D89A4C80 00008214
	ds_write_b64 v20, v[134:135] offset:23936                  // 00000000E8E0: D89A5D80 00008614
	ds_write_b64 v20, v[138:139] offset:28288                  // 00000000E8E8: D89A6E80 00008A14
	ds_write_b64 v20, v[142:143] offset:32640                  // 00000000E8F0: D89A7F80 00008E14
	s_waitcnt lgkmcnt(0)                                       // 00000000E8F8: BF8CC07F
	s_barrier                                                  // 00000000E8FC: BF8A0000
	ds_read_b32 v82, v21                                       // 00000000E900: D86C0000 52000015
	ds_read_b32 v83, v21 offset:64                             // 00000000E908: D86C0040 53000015
	ds_read_b32 v86, v21 offset:2176                           // 00000000E910: D86C0880 56000015
	ds_read_b32 v87, v21 offset:2240                           // 00000000E918: D86C08C0 57000015
	ds_read_b32 v90, v21 offset:4352                           // 00000000E920: D86C1100 5A000015
	ds_read_b32 v91, v21 offset:4416                           // 00000000E928: D86C1140 5B000015
	ds_read_b32 v94, v21 offset:6528                           // 00000000E930: D86C1980 5E000015
	ds_read_b32 v95, v21 offset:6592                           // 00000000E938: D86C19C0 5F000015
	ds_read_b32 v98, v21 offset:8704                           // 00000000E940: D86C2200 62000015
	ds_read_b32 v99, v21 offset:8768                           // 00000000E948: D86C2240 63000015
	ds_read_b32 v102, v21 offset:10880                         // 00000000E950: D86C2A80 66000015
	ds_read_b32 v103, v21 offset:10944                         // 00000000E958: D86C2AC0 67000015
	ds_read_b32 v106, v21 offset:13056                         // 00000000E960: D86C3300 6A000015
	ds_read_b32 v107, v21 offset:13120                         // 00000000E968: D86C3340 6B000015
	ds_read_b32 v110, v21 offset:15232                         // 00000000E970: D86C3B80 6E000015
	ds_read_b32 v111, v21 offset:15296                         // 00000000E978: D86C3BC0 6F000015
	ds_read_b32 v114, v21 offset:17408                         // 00000000E980: D86C4400 72000015
	ds_read_b32 v115, v21 offset:17472                         // 00000000E988: D86C4440 73000015
	ds_read_b32 v118, v21 offset:19584                         // 00000000E990: D86C4C80 76000015
	ds_read_b32 v119, v21 offset:19648                         // 00000000E998: D86C4CC0 77000015
	ds_read_b32 v122, v21 offset:21760                         // 00000000E9A0: D86C5500 7A000015
	ds_read_b32 v123, v21 offset:21824                         // 00000000E9A8: D86C5540 7B000015
	ds_read_b32 v126, v21 offset:23936                         // 00000000E9B0: D86C5D80 7E000015
	ds_read_b32 v127, v21 offset:24000                         // 00000000E9B8: D86C5DC0 7F000015
	ds_read_b32 v130, v21 offset:26112                         // 00000000E9C0: D86C6600 82000015
	ds_read_b32 v131, v21 offset:26176                         // 00000000E9C8: D86C6640 83000015
	ds_read_b32 v134, v21 offset:28288                         // 00000000E9D0: D86C6E80 86000015
	ds_read_b32 v135, v21 offset:28352                         // 00000000E9D8: D86C6EC0 87000015
	ds_read_b32 v138, v21 offset:30464                         // 00000000E9E0: D86C7700 8A000015
	ds_read_b32 v139, v21 offset:30528                         // 00000000E9E8: D86C7740 8B000015
	ds_read_b32 v142, v21 offset:32640                         // 00000000E9F0: D86C7F80 8E000015
	ds_read_b32 v143, v21 offset:32704                         // 00000000E9F8: D86C7FC0 8F000015
	s_waitcnt lgkmcnt(0)                                       // 00000000EA00: BF8CC07F
	v_mov_b32_e32 v7, 0                                        // 00000000EA04: 7E0E0280
	s_mov_b64 exec, s[36:37]                                   // 00000000EA08: BEFE0124
	v_mov_b32_e32 v6, v60                                      // 00000000EA0C: 7E0C033C
	s_mov_b64 s[60:61], 0                                      // 00000000EA10: BEBC0180
	v_readlane_b32 s82, v3, 0                                  // 00000000EA14: D2890052 00010103
	s_and_b32 s82, s82, 0xffffff                               // 00000000EA1C: 8652FF52 00FFFFFF
	s_cmp_lt_u32 s82, s66                                      // 00000000EA24: BF0A4252
	s_cselect_b32 s20, s36, s60                                // 00000000EA28: 85143C24
	v_readlane_b32 s82, v3, 1                                  // 00000000EA2C: D2890052 00010303
	s_and_b32 s82, s82, 0xffffff                               // 00000000EA34: 8652FF52 00FFFFFF
	s_cmp_lt_u32 s82, s66                                      // 00000000EA3C: BF0A4252
	s_cselect_b32 s21, s36, s60                                // 00000000EA40: 85153C24
	s_mov_b64 exec, s[20:21]                                   // 00000000EA44: BEFE0114
	global_atomic_add_f32 v6, v82, s[8:9] offset:8             // 00000000EA48: DD348008 00085206
	global_atomic_add_f32 v6, v86, s[8:9] offset:264           // 00000000EA50: DD348108 00085606
	s_mov_b64 exec, s[36:37]                                   // 00000000EA58: BEFE0124
	v_mov_b32_e32 v6, v61                                      // 00000000EA5C: 7E0C033D
	s_mov_b64 s[60:61], 0                                      // 00000000EA60: BEBC0180
	v_readlane_b32 s82, v3, 2                                  // 00000000EA64: D2890052 00010503
	s_and_b32 s82, s82, 0xffffff                               // 00000000EA6C: 8652FF52 00FFFFFF
	s_cmp_lt_u32 s82, s66                                      // 00000000EA74: BF0A4252
	s_cselect_b32 s20, s36, s60                                // 00000000EA78: 85143C24
	v_readlane_b32 s82, v3, 3                                  // 00000000EA7C: D2890052 00010703
	s_and_b32 s82, s82, 0xffffff                               // 00000000EA84: 8652FF52 00FFFFFF
	s_cmp_lt_u32 s82, s66                                      // 00000000EA8C: BF0A4252
	s_cselect_b32 s21, s36, s60                                // 00000000EA90: 85153C24
	s_mov_b64 exec, s[20:21]                                   // 00000000EA94: BEFE0114
	global_atomic_add_f32 v6, v83, s[8:9] offset:8             // 00000000EA98: DD348008 00085306
	global_atomic_add_f32 v6, v87, s[8:9] offset:264           // 00000000EAA0: DD348108 00085706
	s_mov_b64 exec, s[36:37]                                   // 00000000EAA8: BEFE0124
	v_mov_b32_e32 v6, v62                                      // 00000000EAAC: 7E0C033E
	s_mov_b64 s[60:61], 0                                      // 00000000EAB0: BEBC0180
	v_readlane_b32 s82, v3, 4                                  // 00000000EAB4: D2890052 00010903
	s_and_b32 s82, s82, 0xffffff                               // 00000000EABC: 8652FF52 00FFFFFF
	s_cmp_lt_u32 s82, s66                                      // 00000000EAC4: BF0A4252
	s_cselect_b32 s20, s36, s60                                // 00000000EAC8: 85143C24
	v_readlane_b32 s82, v3, 5                                  // 00000000EACC: D2890052 00010B03
	s_and_b32 s82, s82, 0xffffff                               // 00000000EAD4: 8652FF52 00FFFFFF
	s_cmp_lt_u32 s82, s66                                      // 00000000EADC: BF0A4252
	s_cselect_b32 s21, s36, s60                                // 00000000EAE0: 85153C24
	s_mov_b64 exec, s[20:21]                                   // 00000000EAE4: BEFE0114
	global_atomic_add_f32 v6, v90, s[8:9] offset:8             // 00000000EAE8: DD348008 00085A06
	global_atomic_add_f32 v6, v94, s[8:9] offset:264           // 00000000EAF0: DD348108 00085E06
	s_mov_b64 exec, s[36:37]                                   // 00000000EAF8: BEFE0124
	v_mov_b32_e32 v6, v63                                      // 00000000EAFC: 7E0C033F
	s_mov_b64 s[60:61], 0                                      // 00000000EB00: BEBC0180
	v_readlane_b32 s82, v3, 6                                  // 00000000EB04: D2890052 00010D03
	s_and_b32 s82, s82, 0xffffff                               // 00000000EB0C: 8652FF52 00FFFFFF
	s_cmp_lt_u32 s82, s66                                      // 00000000EB14: BF0A4252
	s_cselect_b32 s20, s36, s60                                // 00000000EB18: 85143C24
	v_readlane_b32 s82, v3, 7                                  // 00000000EB1C: D2890052 00010F03
	s_and_b32 s82, s82, 0xffffff                               // 00000000EB24: 8652FF52 00FFFFFF
	s_cmp_lt_u32 s82, s66                                      // 00000000EB2C: BF0A4252
	s_cselect_b32 s21, s36, s60                                // 00000000EB30: 85153C24
	s_mov_b64 exec, s[20:21]                                   // 00000000EB34: BEFE0114
	global_atomic_add_f32 v6, v91, s[8:9] offset:8             // 00000000EB38: DD348008 00085B06
	global_atomic_add_f32 v6, v95, s[8:9] offset:264           // 00000000EB40: DD348108 00085F06
	s_mov_b64 exec, s[36:37]                                   // 00000000EB48: BEFE0124
	v_mov_b32_e32 v6, v64                                      // 00000000EB4C: 7E0C0340
	s_mov_b64 s[60:61], 0                                      // 00000000EB50: BEBC0180
	v_readlane_b32 s82, v3, 8                                  // 00000000EB54: D2890052 00011103
	s_and_b32 s82, s82, 0xffffff                               // 00000000EB5C: 8652FF52 00FFFFFF
	s_cmp_lt_u32 s82, s66                                      // 00000000EB64: BF0A4252
	s_cselect_b32 s20, s36, s60                                // 00000000EB68: 85143C24
	v_readlane_b32 s82, v3, 9                                  // 00000000EB6C: D2890052 00011303
	s_and_b32 s82, s82, 0xffffff                               // 00000000EB74: 8652FF52 00FFFFFF
	s_cmp_lt_u32 s82, s66                                      // 00000000EB7C: BF0A4252
	s_cselect_b32 s21, s36, s60                                // 00000000EB80: 85153C24
	s_mov_b64 exec, s[20:21]                                   // 00000000EB84: BEFE0114
	global_atomic_add_f32 v6, v98, s[8:9] offset:8             // 00000000EB88: DD348008 00086206
	global_atomic_add_f32 v6, v102, s[8:9] offset:264          // 00000000EB90: DD348108 00086606
	s_mov_b64 exec, s[36:37]                                   // 00000000EB98: BEFE0124
	v_mov_b32_e32 v6, v65                                      // 00000000EB9C: 7E0C0341
	s_mov_b64 s[60:61], 0                                      // 00000000EBA0: BEBC0180
	v_readlane_b32 s82, v3, 10                                 // 00000000EBA4: D2890052 00011503
	s_and_b32 s82, s82, 0xffffff                               // 00000000EBAC: 8652FF52 00FFFFFF
	s_cmp_lt_u32 s82, s66                                      // 00000000EBB4: BF0A4252
	s_cselect_b32 s20, s36, s60                                // 00000000EBB8: 85143C24
	v_readlane_b32 s82, v3, 11                                 // 00000000EBBC: D2890052 00011703
	s_and_b32 s82, s82, 0xffffff                               // 00000000EBC4: 8652FF52 00FFFFFF
	s_cmp_lt_u32 s82, s66                                      // 00000000EBCC: BF0A4252
	s_cselect_b32 s21, s36, s60                                // 00000000EBD0: 85153C24
	s_mov_b64 exec, s[20:21]                                   // 00000000EBD4: BEFE0114
	global_atomic_add_f32 v6, v99, s[8:9] offset:8             // 00000000EBD8: DD348008 00086306
	global_atomic_add_f32 v6, v103, s[8:9] offset:264          // 00000000EBE0: DD348108 00086706
	s_mov_b64 exec, s[36:37]                                   // 00000000EBE8: BEFE0124
	v_mov_b32_e32 v6, v66                                      // 00000000EBEC: 7E0C0342
	s_mov_b64 s[60:61], 0                                      // 00000000EBF0: BEBC0180
	v_readlane_b32 s82, v3, 12                                 // 00000000EBF4: D2890052 00011903
	s_and_b32 s82, s82, 0xffffff                               // 00000000EBFC: 8652FF52 00FFFFFF
	s_cmp_lt_u32 s82, s66                                      // 00000000EC04: BF0A4252
	s_cselect_b32 s20, s36, s60                                // 00000000EC08: 85143C24
	v_readlane_b32 s82, v3, 13                                 // 00000000EC0C: D2890052 00011B03
	s_and_b32 s82, s82, 0xffffff                               // 00000000EC14: 8652FF52 00FFFFFF
	s_cmp_lt_u32 s82, s66                                      // 00000000EC1C: BF0A4252
	s_cselect_b32 s21, s36, s60                                // 00000000EC20: 85153C24
	s_mov_b64 exec, s[20:21]                                   // 00000000EC24: BEFE0114
	global_atomic_add_f32 v6, v106, s[8:9] offset:8            // 00000000EC28: DD348008 00086A06
	global_atomic_add_f32 v6, v110, s[8:9] offset:264          // 00000000EC30: DD348108 00086E06
	s_mov_b64 exec, s[36:37]                                   // 00000000EC38: BEFE0124
	v_mov_b32_e32 v6, v67                                      // 00000000EC3C: 7E0C0343
	s_mov_b64 s[60:61], 0                                      // 00000000EC40: BEBC0180
	v_readlane_b32 s82, v3, 14                                 // 00000000EC44: D2890052 00011D03
	s_and_b32 s82, s82, 0xffffff                               // 00000000EC4C: 8652FF52 00FFFFFF
	s_cmp_lt_u32 s82, s66                                      // 00000000EC54: BF0A4252
	s_cselect_b32 s20, s36, s60                                // 00000000EC58: 85143C24
	v_readlane_b32 s82, v3, 15                                 // 00000000EC5C: D2890052 00011F03
	s_and_b32 s82, s82, 0xffffff                               // 00000000EC64: 8652FF52 00FFFFFF
	s_cmp_lt_u32 s82, s66                                      // 00000000EC6C: BF0A4252
	s_cselect_b32 s21, s36, s60                                // 00000000EC70: 85153C24
	s_mov_b64 exec, s[20:21]                                   // 00000000EC74: BEFE0114
	global_atomic_add_f32 v6, v107, s[8:9] offset:8            // 00000000EC78: DD348008 00086B06
	global_atomic_add_f32 v6, v111, s[8:9] offset:264          // 00000000EC80: DD348108 00086F06
	s_mov_b64 exec, s[36:37]                                   // 00000000EC88: BEFE0124
	v_mov_b32_e32 v6, v68                                      // 00000000EC8C: 7E0C0344
	s_mov_b64 s[60:61], 0                                      // 00000000EC90: BEBC0180
	v_readlane_b32 s82, v3, 16                                 // 00000000EC94: D2890052 00012103
	s_and_b32 s82, s82, 0xffffff                               // 00000000EC9C: 8652FF52 00FFFFFF
	s_cmp_lt_u32 s82, s66                                      // 00000000ECA4: BF0A4252
	s_cselect_b32 s20, s36, s60                                // 00000000ECA8: 85143C24
	v_readlane_b32 s82, v3, 17                                 // 00000000ECAC: D2890052 00012303
	s_and_b32 s82, s82, 0xffffff                               // 00000000ECB4: 8652FF52 00FFFFFF
	s_cmp_lt_u32 s82, s66                                      // 00000000ECBC: BF0A4252
	s_cselect_b32 s21, s36, s60                                // 00000000ECC0: 85153C24
	s_mov_b64 exec, s[20:21]                                   // 00000000ECC4: BEFE0114
	global_atomic_add_f32 v6, v114, s[8:9] offset:8            // 00000000ECC8: DD348008 00087206
	global_atomic_add_f32 v6, v118, s[8:9] offset:264          // 00000000ECD0: DD348108 00087606
	s_mov_b64 exec, s[36:37]                                   // 00000000ECD8: BEFE0124
	v_mov_b32_e32 v6, v69                                      // 00000000ECDC: 7E0C0345
	s_mov_b64 s[60:61], 0                                      // 00000000ECE0: BEBC0180
	v_readlane_b32 s82, v3, 18                                 // 00000000ECE4: D2890052 00012503
	s_and_b32 s82, s82, 0xffffff                               // 00000000ECEC: 8652FF52 00FFFFFF
	s_cmp_lt_u32 s82, s66                                      // 00000000ECF4: BF0A4252
	s_cselect_b32 s20, s36, s60                                // 00000000ECF8: 85143C24
	v_readlane_b32 s82, v3, 19                                 // 00000000ECFC: D2890052 00012703
	s_and_b32 s82, s82, 0xffffff                               // 00000000ED04: 8652FF52 00FFFFFF
	s_cmp_lt_u32 s82, s66                                      // 00000000ED0C: BF0A4252
	s_cselect_b32 s21, s36, s60                                // 00000000ED10: 85153C24
	s_mov_b64 exec, s[20:21]                                   // 00000000ED14: BEFE0114
	global_atomic_add_f32 v6, v115, s[8:9] offset:8            // 00000000ED18: DD348008 00087306
	global_atomic_add_f32 v6, v119, s[8:9] offset:264          // 00000000ED20: DD348108 00087706
	s_mov_b64 exec, s[36:37]                                   // 00000000ED28: BEFE0124
	v_mov_b32_e32 v6, v70                                      // 00000000ED2C: 7E0C0346
	s_mov_b64 s[60:61], 0                                      // 00000000ED30: BEBC0180
	v_readlane_b32 s82, v3, 20                                 // 00000000ED34: D2890052 00012903
	s_and_b32 s82, s82, 0xffffff                               // 00000000ED3C: 8652FF52 00FFFFFF
	s_cmp_lt_u32 s82, s66                                      // 00000000ED44: BF0A4252
	s_cselect_b32 s20, s36, s60                                // 00000000ED48: 85143C24
	v_readlane_b32 s82, v3, 21                                 // 00000000ED4C: D2890052 00012B03
	s_and_b32 s82, s82, 0xffffff                               // 00000000ED54: 8652FF52 00FFFFFF
	s_cmp_lt_u32 s82, s66                                      // 00000000ED5C: BF0A4252
	s_cselect_b32 s21, s36, s60                                // 00000000ED60: 85153C24
	s_mov_b64 exec, s[20:21]                                   // 00000000ED64: BEFE0114
	global_atomic_add_f32 v6, v122, s[8:9] offset:8            // 00000000ED68: DD348008 00087A06
	global_atomic_add_f32 v6, v126, s[8:9] offset:264          // 00000000ED70: DD348108 00087E06
	s_mov_b64 exec, s[36:37]                                   // 00000000ED78: BEFE0124
	v_mov_b32_e32 v6, v71                                      // 00000000ED7C: 7E0C0347
	s_mov_b64 s[60:61], 0                                      // 00000000ED80: BEBC0180
	v_readlane_b32 s82, v3, 22                                 // 00000000ED84: D2890052 00012D03
	s_and_b32 s82, s82, 0xffffff                               // 00000000ED8C: 8652FF52 00FFFFFF
	s_cmp_lt_u32 s82, s66                                      // 00000000ED94: BF0A4252
	s_cselect_b32 s20, s36, s60                                // 00000000ED98: 85143C24
	v_readlane_b32 s82, v3, 23                                 // 00000000ED9C: D2890052 00012F03
	s_and_b32 s82, s82, 0xffffff                               // 00000000EDA4: 8652FF52 00FFFFFF
	s_cmp_lt_u32 s82, s66                                      // 00000000EDAC: BF0A4252
	s_cselect_b32 s21, s36, s60                                // 00000000EDB0: 85153C24
	s_mov_b64 exec, s[20:21]                                   // 00000000EDB4: BEFE0114
	global_atomic_add_f32 v6, v123, s[8:9] offset:8            // 00000000EDB8: DD348008 00087B06
	global_atomic_add_f32 v6, v127, s[8:9] offset:264          // 00000000EDC0: DD348108 00087F06
	s_mov_b64 exec, s[36:37]                                   // 00000000EDC8: BEFE0124
	v_mov_b32_e32 v6, v72                                      // 00000000EDCC: 7E0C0348
	s_mov_b64 s[60:61], 0                                      // 00000000EDD0: BEBC0180
	v_readlane_b32 s82, v3, 24                                 // 00000000EDD4: D2890052 00013103
	s_and_b32 s82, s82, 0xffffff                               // 00000000EDDC: 8652FF52 00FFFFFF
	s_cmp_lt_u32 s82, s66                                      // 00000000EDE4: BF0A4252
	s_cselect_b32 s20, s36, s60                                // 00000000EDE8: 85143C24
	v_readlane_b32 s82, v3, 25                                 // 00000000EDEC: D2890052 00013303
	s_and_b32 s82, s82, 0xffffff                               // 00000000EDF4: 8652FF52 00FFFFFF
	s_cmp_lt_u32 s82, s66                                      // 00000000EDFC: BF0A4252
	s_cselect_b32 s21, s36, s60                                // 00000000EE00: 85153C24
	s_mov_b64 exec, s[20:21]                                   // 00000000EE04: BEFE0114
	global_atomic_add_f32 v6, v130, s[8:9] offset:8            // 00000000EE08: DD348008 00088206
	global_atomic_add_f32 v6, v134, s[8:9] offset:264          // 00000000EE10: DD348108 00088606
	s_mov_b64 exec, s[36:37]                                   // 00000000EE18: BEFE0124
	v_mov_b32_e32 v6, v73                                      // 00000000EE1C: 7E0C0349
	s_mov_b64 s[60:61], 0                                      // 00000000EE20: BEBC0180
	v_readlane_b32 s82, v3, 26                                 // 00000000EE24: D2890052 00013503
	s_and_b32 s82, s82, 0xffffff                               // 00000000EE2C: 8652FF52 00FFFFFF
	s_cmp_lt_u32 s82, s66                                      // 00000000EE34: BF0A4252
	s_cselect_b32 s20, s36, s60                                // 00000000EE38: 85143C24
	v_readlane_b32 s82, v3, 27                                 // 00000000EE3C: D2890052 00013703
	s_and_b32 s82, s82, 0xffffff                               // 00000000EE44: 8652FF52 00FFFFFF
	s_cmp_lt_u32 s82, s66                                      // 00000000EE4C: BF0A4252
	s_cselect_b32 s21, s36, s60                                // 00000000EE50: 85153C24
	s_mov_b64 exec, s[20:21]                                   // 00000000EE54: BEFE0114
	global_atomic_add_f32 v6, v131, s[8:9] offset:8            // 00000000EE58: DD348008 00088306
	global_atomic_add_f32 v6, v135, s[8:9] offset:264          // 00000000EE60: DD348108 00088706
	s_mov_b64 exec, s[36:37]                                   // 00000000EE68: BEFE0124
	v_mov_b32_e32 v6, v74                                      // 00000000EE6C: 7E0C034A
	s_mov_b64 s[60:61], 0                                      // 00000000EE70: BEBC0180
	v_readlane_b32 s82, v3, 28                                 // 00000000EE74: D2890052 00013903
	s_and_b32 s82, s82, 0xffffff                               // 00000000EE7C: 8652FF52 00FFFFFF
	s_cmp_lt_u32 s82, s66                                      // 00000000EE84: BF0A4252
	s_cselect_b32 s20, s36, s60                                // 00000000EE88: 85143C24
	v_readlane_b32 s82, v3, 29                                 // 00000000EE8C: D2890052 00013B03
	s_and_b32 s82, s82, 0xffffff                               // 00000000EE94: 8652FF52 00FFFFFF
	s_cmp_lt_u32 s82, s66                                      // 00000000EE9C: BF0A4252
	s_cselect_b32 s21, s36, s60                                // 00000000EEA0: 85153C24
	s_mov_b64 exec, s[20:21]                                   // 00000000EEA4: BEFE0114
	global_atomic_add_f32 v6, v138, s[8:9] offset:8            // 00000000EEA8: DD348008 00088A06
	global_atomic_add_f32 v6, v142, s[8:9] offset:264          // 00000000EEB0: DD348108 00088E06
	s_mov_b64 exec, s[36:37]                                   // 00000000EEB8: BEFE0124
	v_mov_b32_e32 v6, v75                                      // 00000000EEBC: 7E0C034B
	s_mov_b64 s[60:61], 0                                      // 00000000EEC0: BEBC0180
	v_readlane_b32 s82, v3, 30                                 // 00000000EEC4: D2890052 00013D03
	s_and_b32 s82, s82, 0xffffff                               // 00000000EECC: 8652FF52 00FFFFFF
	s_cmp_lt_u32 s82, s66                                      // 00000000EED4: BF0A4252
	s_cselect_b32 s20, s36, s60                                // 00000000EED8: 85143C24
	v_readlane_b32 s82, v3, 31                                 // 00000000EEDC: D2890052 00013F03
	s_and_b32 s82, s82, 0xffffff                               // 00000000EEE4: 8652FF52 00FFFFFF
	s_cmp_lt_u32 s82, s66                                      // 00000000EEEC: BF0A4252
	s_cselect_b32 s21, s36, s60                                // 00000000EEF0: 85153C24
	s_mov_b64 exec, s[20:21]                                   // 00000000EEF4: BEFE0114
	global_atomic_add_f32 v6, v139, s[8:9] offset:8            // 00000000EEF8: DD348008 00088B06
	global_atomic_add_f32 v6, v143, s[8:9] offset:264          // 00000000EF00: DD348108 00088F06
	s_mov_b64 exec, s[36:37]                                   // 00000000EF08: BEFE0124
	ds_write_b64 v20, v[144:145]                               // 00000000EF0C: D89A0000 00009014
	ds_write_b64 v20, v[148:149] offset:4352                   // 00000000EF14: D89A1100 00009414
	ds_write_b64 v20, v[152:153] offset:8704                   // 00000000EF1C: D89A2200 00009814
	ds_write_b64 v20, v[156:157] offset:13056                  // 00000000EF24: D89A3300 00009C14
	ds_write_b64 v20, v[160:161] offset:17408                  // 00000000EF2C: D89A4400 0000A014
	ds_write_b64 v20, v[164:165] offset:21760                  // 00000000EF34: D89A5500 0000A414
	ds_write_b64 v20, v[168:169] offset:26112                  // 00000000EF3C: D89A6600 0000A814
	ds_write_b64 v20, v[172:173] offset:30464                  // 00000000EF44: D89A7700 0000AC14
	ds_write_b64 v20, v[176:177] offset:2176                   // 00000000EF4C: D89A0880 0000B014
	ds_write_b64 v20, v[180:181] offset:6528                   // 00000000EF54: D89A1980 0000B414
	ds_write_b64 v20, v[184:185] offset:10880                  // 00000000EF5C: D89A2A80 0000B814
	ds_write_b64 v20, v[188:189] offset:15232                  // 00000000EF64: D89A3B80 0000BC14
	ds_write_b64 v20, v[192:193] offset:19584                  // 00000000EF6C: D89A4C80 0000C014
	ds_write_b64 v20, v[196:197] offset:23936                  // 00000000EF74: D89A5D80 0000C414
	ds_write_b64 v20, v[200:201] offset:28288                  // 00000000EF7C: D89A6E80 0000C814
	ds_write_b64 v20, v[204:205] offset:32640                  // 00000000EF84: D89A7F80 0000CC14
	s_waitcnt lgkmcnt(0)                                       // 00000000EF8C: BF8CC07F
	s_barrier                                                  // 00000000EF90: BF8A0000
	ds_read_b32 v144, v21                                      // 00000000EF94: D86C0000 90000015
	ds_read_b32 v145, v21 offset:64                            // 00000000EF9C: D86C0040 91000015
	ds_read_b32 v148, v21 offset:2176                          // 00000000EFA4: D86C0880 94000015
	ds_read_b32 v149, v21 offset:2240                          // 00000000EFAC: D86C08C0 95000015
	ds_read_b32 v152, v21 offset:4352                          // 00000000EFB4: D86C1100 98000015
	ds_read_b32 v153, v21 offset:4416                          // 00000000EFBC: D86C1140 99000015
	ds_read_b32 v156, v21 offset:6528                          // 00000000EFC4: D86C1980 9C000015
	ds_read_b32 v157, v21 offset:6592                          // 00000000EFCC: D86C19C0 9D000015
	ds_read_b32 v160, v21 offset:8704                          // 00000000EFD4: D86C2200 A0000015
	ds_read_b32 v161, v21 offset:8768                          // 00000000EFDC: D86C2240 A1000015
	ds_read_b32 v164, v21 offset:10880                         // 00000000EFE4: D86C2A80 A4000015
	ds_read_b32 v165, v21 offset:10944                         // 00000000EFEC: D86C2AC0 A5000015
	ds_read_b32 v168, v21 offset:13056                         // 00000000EFF4: D86C3300 A8000015
	ds_read_b32 v169, v21 offset:13120                         // 00000000EFFC: D86C3340 A9000015
	ds_read_b32 v172, v21 offset:15232                         // 00000000F004: D86C3B80 AC000015
	ds_read_b32 v173, v21 offset:15296                         // 00000000F00C: D86C3BC0 AD000015
	ds_read_b32 v176, v21 offset:17408                         // 00000000F014: D86C4400 B0000015
	ds_read_b32 v177, v21 offset:17472                         // 00000000F01C: D86C4440 B1000015
	ds_read_b32 v180, v21 offset:19584                         // 00000000F024: D86C4C80 B4000015
	ds_read_b32 v181, v21 offset:19648                         // 00000000F02C: D86C4CC0 B5000015
	ds_read_b32 v184, v21 offset:21760                         // 00000000F034: D86C5500 B8000015
	ds_read_b32 v185, v21 offset:21824                         // 00000000F03C: D86C5540 B9000015
	ds_read_b32 v188, v21 offset:23936                         // 00000000F044: D86C5D80 BC000015
	ds_read_b32 v189, v21 offset:24000                         // 00000000F04C: D86C5DC0 BD000015
	ds_read_b32 v192, v21 offset:26112                         // 00000000F054: D86C6600 C0000015
	ds_read_b32 v193, v21 offset:26176                         // 00000000F05C: D86C6640 C1000015
	ds_read_b32 v196, v21 offset:28288                         // 00000000F064: D86C6E80 C4000015
	ds_read_b32 v197, v21 offset:28352                         // 00000000F06C: D86C6EC0 C5000015
	ds_read_b32 v200, v21 offset:30464                         // 00000000F074: D86C7700 C8000015
	ds_read_b32 v201, v21 offset:30528                         // 00000000F07C: D86C7740 C9000015
	ds_read_b32 v204, v21 offset:32640                         // 00000000F084: D86C7F80 CC000015
	ds_read_b32 v205, v21 offset:32704                         // 00000000F08C: D86C7FC0 CD000015
	s_mul_i32 s60, s65, 4                                      // 00000000F094: 923C8441
	s_add_u32 s8, s60, s8                                      // 00000000F098: 8008083C
	s_addc_u32 s9, 0, s9                                       // 00000000F09C: 82090980
	s_waitcnt lgkmcnt(0)                                       // 00000000F0A0: BF8CC07F
	v_mov_b32_e32 v7, 0                                        // 00000000F0A4: 7E0E0280
	s_mov_b64 exec, s[36:37]                                   // 00000000F0A8: BEFE0124
	v_mov_b32_e32 v6, v60                                      // 00000000F0AC: 7E0C033C
	s_mov_b64 s[60:61], 0                                      // 00000000F0B0: BEBC0180
	v_readlane_b32 s82, v3, 0                                  // 00000000F0B4: D2890052 00010103
	s_and_b32 s82, s82, 0xffffff                               // 00000000F0BC: 8652FF52 00FFFFFF
	s_cmp_lt_u32 s82, s66                                      // 00000000F0C4: BF0A4252
	s_cselect_b32 s20, s36, s60                                // 00000000F0C8: 85143C24
	v_readlane_b32 s82, v3, 1                                  // 00000000F0CC: D2890052 00010303
	s_and_b32 s82, s82, 0xffffff                               // 00000000F0D4: 8652FF52 00FFFFFF
	s_cmp_lt_u32 s82, s66                                      // 00000000F0DC: BF0A4252
	s_cselect_b32 s21, s36, s60                                // 00000000F0E0: 85153C24
	s_mov_b64 exec, s[20:21]                                   // 00000000F0E4: BEFE0114
	global_atomic_add_f32 v6, v144, s[8:9]                     // 00000000F0E8: DD348000 00089006
	global_atomic_add_f32 v6, v148, s[8:9] offset:256          // 00000000F0F0: DD348100 00089406
	s_mov_b64 exec, s[36:37]                                   // 00000000F0F8: BEFE0124
	v_mov_b32_e32 v6, v61                                      // 00000000F0FC: 7E0C033D
	s_mov_b64 s[60:61], 0                                      // 00000000F100: BEBC0180
	v_readlane_b32 s82, v3, 2                                  // 00000000F104: D2890052 00010503
	s_and_b32 s82, s82, 0xffffff                               // 00000000F10C: 8652FF52 00FFFFFF
	s_cmp_lt_u32 s82, s66                                      // 00000000F114: BF0A4252
	s_cselect_b32 s20, s36, s60                                // 00000000F118: 85143C24
	v_readlane_b32 s82, v3, 3                                  // 00000000F11C: D2890052 00010703
	s_and_b32 s82, s82, 0xffffff                               // 00000000F124: 8652FF52 00FFFFFF
	s_cmp_lt_u32 s82, s66                                      // 00000000F12C: BF0A4252
	s_cselect_b32 s21, s36, s60                                // 00000000F130: 85153C24
	s_mov_b64 exec, s[20:21]                                   // 00000000F134: BEFE0114
	global_atomic_add_f32 v6, v145, s[8:9]                     // 00000000F138: DD348000 00089106
	global_atomic_add_f32 v6, v149, s[8:9] offset:256          // 00000000F140: DD348100 00089506
	s_mov_b64 exec, s[36:37]                                   // 00000000F148: BEFE0124
	v_mov_b32_e32 v6, v62                                      // 00000000F14C: 7E0C033E
	s_mov_b64 s[60:61], 0                                      // 00000000F150: BEBC0180
	v_readlane_b32 s82, v3, 4                                  // 00000000F154: D2890052 00010903
	s_and_b32 s82, s82, 0xffffff                               // 00000000F15C: 8652FF52 00FFFFFF
	s_cmp_lt_u32 s82, s66                                      // 00000000F164: BF0A4252
	s_cselect_b32 s20, s36, s60                                // 00000000F168: 85143C24
	v_readlane_b32 s82, v3, 5                                  // 00000000F16C: D2890052 00010B03
	s_and_b32 s82, s82, 0xffffff                               // 00000000F174: 8652FF52 00FFFFFF
	s_cmp_lt_u32 s82, s66                                      // 00000000F17C: BF0A4252
	s_cselect_b32 s21, s36, s60                                // 00000000F180: 85153C24
	s_mov_b64 exec, s[20:21]                                   // 00000000F184: BEFE0114
	global_atomic_add_f32 v6, v152, s[8:9]                     // 00000000F188: DD348000 00089806
	global_atomic_add_f32 v6, v156, s[8:9] offset:256          // 00000000F190: DD348100 00089C06
	s_mov_b64 exec, s[36:37]                                   // 00000000F198: BEFE0124
	v_mov_b32_e32 v6, v63                                      // 00000000F19C: 7E0C033F
	s_mov_b64 s[60:61], 0                                      // 00000000F1A0: BEBC0180
	v_readlane_b32 s82, v3, 6                                  // 00000000F1A4: D2890052 00010D03
	s_and_b32 s82, s82, 0xffffff                               // 00000000F1AC: 8652FF52 00FFFFFF
	s_cmp_lt_u32 s82, s66                                      // 00000000F1B4: BF0A4252
	s_cselect_b32 s20, s36, s60                                // 00000000F1B8: 85143C24
	v_readlane_b32 s82, v3, 7                                  // 00000000F1BC: D2890052 00010F03
	s_and_b32 s82, s82, 0xffffff                               // 00000000F1C4: 8652FF52 00FFFFFF
	s_cmp_lt_u32 s82, s66                                      // 00000000F1CC: BF0A4252
	s_cselect_b32 s21, s36, s60                                // 00000000F1D0: 85153C24
	s_mov_b64 exec, s[20:21]                                   // 00000000F1D4: BEFE0114
	global_atomic_add_f32 v6, v153, s[8:9]                     // 00000000F1D8: DD348000 00089906
	global_atomic_add_f32 v6, v157, s[8:9] offset:256          // 00000000F1E0: DD348100 00089D06
	s_mov_b64 exec, s[36:37]                                   // 00000000F1E8: BEFE0124
	v_mov_b32_e32 v6, v64                                      // 00000000F1EC: 7E0C0340
	s_mov_b64 s[60:61], 0                                      // 00000000F1F0: BEBC0180
	v_readlane_b32 s82, v3, 8                                  // 00000000F1F4: D2890052 00011103
	s_and_b32 s82, s82, 0xffffff                               // 00000000F1FC: 8652FF52 00FFFFFF
	s_cmp_lt_u32 s82, s66                                      // 00000000F204: BF0A4252
	s_cselect_b32 s20, s36, s60                                // 00000000F208: 85143C24
	v_readlane_b32 s82, v3, 9                                  // 00000000F20C: D2890052 00011303
	s_and_b32 s82, s82, 0xffffff                               // 00000000F214: 8652FF52 00FFFFFF
	s_cmp_lt_u32 s82, s66                                      // 00000000F21C: BF0A4252
	s_cselect_b32 s21, s36, s60                                // 00000000F220: 85153C24
	s_mov_b64 exec, s[20:21]                                   // 00000000F224: BEFE0114
	global_atomic_add_f32 v6, v160, s[8:9]                     // 00000000F228: DD348000 0008A006
	global_atomic_add_f32 v6, v164, s[8:9] offset:256          // 00000000F230: DD348100 0008A406
	s_mov_b64 exec, s[36:37]                                   // 00000000F238: BEFE0124
	v_mov_b32_e32 v6, v65                                      // 00000000F23C: 7E0C0341
	s_mov_b64 s[60:61], 0                                      // 00000000F240: BEBC0180
	v_readlane_b32 s82, v3, 10                                 // 00000000F244: D2890052 00011503
	s_and_b32 s82, s82, 0xffffff                               // 00000000F24C: 8652FF52 00FFFFFF
	s_cmp_lt_u32 s82, s66                                      // 00000000F254: BF0A4252
	s_cselect_b32 s20, s36, s60                                // 00000000F258: 85143C24
	v_readlane_b32 s82, v3, 11                                 // 00000000F25C: D2890052 00011703
	s_and_b32 s82, s82, 0xffffff                               // 00000000F264: 8652FF52 00FFFFFF
	s_cmp_lt_u32 s82, s66                                      // 00000000F26C: BF0A4252
	s_cselect_b32 s21, s36, s60                                // 00000000F270: 85153C24
	s_mov_b64 exec, s[20:21]                                   // 00000000F274: BEFE0114
	global_atomic_add_f32 v6, v161, s[8:9]                     // 00000000F278: DD348000 0008A106
	global_atomic_add_f32 v6, v165, s[8:9] offset:256          // 00000000F280: DD348100 0008A506
	s_mov_b64 exec, s[36:37]                                   // 00000000F288: BEFE0124
	v_mov_b32_e32 v6, v66                                      // 00000000F28C: 7E0C0342
	s_mov_b64 s[60:61], 0                                      // 00000000F290: BEBC0180
	v_readlane_b32 s82, v3, 12                                 // 00000000F294: D2890052 00011903
	s_and_b32 s82, s82, 0xffffff                               // 00000000F29C: 8652FF52 00FFFFFF
	s_cmp_lt_u32 s82, s66                                      // 00000000F2A4: BF0A4252
	s_cselect_b32 s20, s36, s60                                // 00000000F2A8: 85143C24
	v_readlane_b32 s82, v3, 13                                 // 00000000F2AC: D2890052 00011B03
	s_and_b32 s82, s82, 0xffffff                               // 00000000F2B4: 8652FF52 00FFFFFF
	s_cmp_lt_u32 s82, s66                                      // 00000000F2BC: BF0A4252
	s_cselect_b32 s21, s36, s60                                // 00000000F2C0: 85153C24
	s_mov_b64 exec, s[20:21]                                   // 00000000F2C4: BEFE0114
	global_atomic_add_f32 v6, v168, s[8:9]                     // 00000000F2C8: DD348000 0008A806
	global_atomic_add_f32 v6, v172, s[8:9] offset:256          // 00000000F2D0: DD348100 0008AC06
	s_mov_b64 exec, s[36:37]                                   // 00000000F2D8: BEFE0124
	v_mov_b32_e32 v6, v67                                      // 00000000F2DC: 7E0C0343
	s_mov_b64 s[60:61], 0                                      // 00000000F2E0: BEBC0180
	v_readlane_b32 s82, v3, 14                                 // 00000000F2E4: D2890052 00011D03
	s_and_b32 s82, s82, 0xffffff                               // 00000000F2EC: 8652FF52 00FFFFFF
	s_cmp_lt_u32 s82, s66                                      // 00000000F2F4: BF0A4252
	s_cselect_b32 s20, s36, s60                                // 00000000F2F8: 85143C24
	v_readlane_b32 s82, v3, 15                                 // 00000000F2FC: D2890052 00011F03
	s_and_b32 s82, s82, 0xffffff                               // 00000000F304: 8652FF52 00FFFFFF
	s_cmp_lt_u32 s82, s66                                      // 00000000F30C: BF0A4252
	s_cselect_b32 s21, s36, s60                                // 00000000F310: 85153C24
	s_mov_b64 exec, s[20:21]                                   // 00000000F314: BEFE0114
	global_atomic_add_f32 v6, v169, s[8:9]                     // 00000000F318: DD348000 0008A906
	global_atomic_add_f32 v6, v173, s[8:9] offset:256          // 00000000F320: DD348100 0008AD06
	s_mov_b64 exec, s[36:37]                                   // 00000000F328: BEFE0124
	v_mov_b32_e32 v6, v68                                      // 00000000F32C: 7E0C0344
	s_mov_b64 s[60:61], 0                                      // 00000000F330: BEBC0180
	v_readlane_b32 s82, v3, 16                                 // 00000000F334: D2890052 00012103
	s_and_b32 s82, s82, 0xffffff                               // 00000000F33C: 8652FF52 00FFFFFF
	s_cmp_lt_u32 s82, s66                                      // 00000000F344: BF0A4252
	s_cselect_b32 s20, s36, s60                                // 00000000F348: 85143C24
	v_readlane_b32 s82, v3, 17                                 // 00000000F34C: D2890052 00012303
	s_and_b32 s82, s82, 0xffffff                               // 00000000F354: 8652FF52 00FFFFFF
	s_cmp_lt_u32 s82, s66                                      // 00000000F35C: BF0A4252
	s_cselect_b32 s21, s36, s60                                // 00000000F360: 85153C24
	s_mov_b64 exec, s[20:21]                                   // 00000000F364: BEFE0114
	global_atomic_add_f32 v6, v176, s[8:9]                     // 00000000F368: DD348000 0008B006
	global_atomic_add_f32 v6, v180, s[8:9] offset:256          // 00000000F370: DD348100 0008B406
	s_mov_b64 exec, s[36:37]                                   // 00000000F378: BEFE0124
	v_mov_b32_e32 v6, v69                                      // 00000000F37C: 7E0C0345
	s_mov_b64 s[60:61], 0                                      // 00000000F380: BEBC0180
	v_readlane_b32 s82, v3, 18                                 // 00000000F384: D2890052 00012503
	s_and_b32 s82, s82, 0xffffff                               // 00000000F38C: 8652FF52 00FFFFFF
	s_cmp_lt_u32 s82, s66                                      // 00000000F394: BF0A4252
	s_cselect_b32 s20, s36, s60                                // 00000000F398: 85143C24
	v_readlane_b32 s82, v3, 19                                 // 00000000F39C: D2890052 00012703
	s_and_b32 s82, s82, 0xffffff                               // 00000000F3A4: 8652FF52 00FFFFFF
	s_cmp_lt_u32 s82, s66                                      // 00000000F3AC: BF0A4252
	s_cselect_b32 s21, s36, s60                                // 00000000F3B0: 85153C24
	s_mov_b64 exec, s[20:21]                                   // 00000000F3B4: BEFE0114
	global_atomic_add_f32 v6, v177, s[8:9]                     // 00000000F3B8: DD348000 0008B106
	global_atomic_add_f32 v6, v181, s[8:9] offset:256          // 00000000F3C0: DD348100 0008B506
	s_mov_b64 exec, s[36:37]                                   // 00000000F3C8: BEFE0124
	v_mov_b32_e32 v6, v70                                      // 00000000F3CC: 7E0C0346
	s_mov_b64 s[60:61], 0                                      // 00000000F3D0: BEBC0180
	v_readlane_b32 s82, v3, 20                                 // 00000000F3D4: D2890052 00012903
	s_and_b32 s82, s82, 0xffffff                               // 00000000F3DC: 8652FF52 00FFFFFF
	s_cmp_lt_u32 s82, s66                                      // 00000000F3E4: BF0A4252
	s_cselect_b32 s20, s36, s60                                // 00000000F3E8: 85143C24
	v_readlane_b32 s82, v3, 21                                 // 00000000F3EC: D2890052 00012B03
	s_and_b32 s82, s82, 0xffffff                               // 00000000F3F4: 8652FF52 00FFFFFF
	s_cmp_lt_u32 s82, s66                                      // 00000000F3FC: BF0A4252
	s_cselect_b32 s21, s36, s60                                // 00000000F400: 85153C24
	s_mov_b64 exec, s[20:21]                                   // 00000000F404: BEFE0114
	global_atomic_add_f32 v6, v184, s[8:9]                     // 00000000F408: DD348000 0008B806
	global_atomic_add_f32 v6, v188, s[8:9] offset:256          // 00000000F410: DD348100 0008BC06
	s_mov_b64 exec, s[36:37]                                   // 00000000F418: BEFE0124
	v_mov_b32_e32 v6, v71                                      // 00000000F41C: 7E0C0347
	s_mov_b64 s[60:61], 0                                      // 00000000F420: BEBC0180
	v_readlane_b32 s82, v3, 22                                 // 00000000F424: D2890052 00012D03
	s_and_b32 s82, s82, 0xffffff                               // 00000000F42C: 8652FF52 00FFFFFF
	s_cmp_lt_u32 s82, s66                                      // 00000000F434: BF0A4252
	s_cselect_b32 s20, s36, s60                                // 00000000F438: 85143C24
	v_readlane_b32 s82, v3, 23                                 // 00000000F43C: D2890052 00012F03
	s_and_b32 s82, s82, 0xffffff                               // 00000000F444: 8652FF52 00FFFFFF
	s_cmp_lt_u32 s82, s66                                      // 00000000F44C: BF0A4252
	s_cselect_b32 s21, s36, s60                                // 00000000F450: 85153C24
	s_mov_b64 exec, s[20:21]                                   // 00000000F454: BEFE0114
	global_atomic_add_f32 v6, v185, s[8:9]                     // 00000000F458: DD348000 0008B906
	global_atomic_add_f32 v6, v189, s[8:9] offset:256          // 00000000F460: DD348100 0008BD06
	s_mov_b64 exec, s[36:37]                                   // 00000000F468: BEFE0124
	v_mov_b32_e32 v6, v72                                      // 00000000F46C: 7E0C0348
	s_mov_b64 s[60:61], 0                                      // 00000000F470: BEBC0180
	v_readlane_b32 s82, v3, 24                                 // 00000000F474: D2890052 00013103
	s_and_b32 s82, s82, 0xffffff                               // 00000000F47C: 8652FF52 00FFFFFF
	s_cmp_lt_u32 s82, s66                                      // 00000000F484: BF0A4252
	s_cselect_b32 s20, s36, s60                                // 00000000F488: 85143C24
	v_readlane_b32 s82, v3, 25                                 // 00000000F48C: D2890052 00013303
	s_and_b32 s82, s82, 0xffffff                               // 00000000F494: 8652FF52 00FFFFFF
	s_cmp_lt_u32 s82, s66                                      // 00000000F49C: BF0A4252
	s_cselect_b32 s21, s36, s60                                // 00000000F4A0: 85153C24
	s_mov_b64 exec, s[20:21]                                   // 00000000F4A4: BEFE0114
	global_atomic_add_f32 v6, v192, s[8:9]                     // 00000000F4A8: DD348000 0008C006
	global_atomic_add_f32 v6, v196, s[8:9] offset:256          // 00000000F4B0: DD348100 0008C406
	s_mov_b64 exec, s[36:37]                                   // 00000000F4B8: BEFE0124
	v_mov_b32_e32 v6, v73                                      // 00000000F4BC: 7E0C0349
	s_mov_b64 s[60:61], 0                                      // 00000000F4C0: BEBC0180
	v_readlane_b32 s82, v3, 26                                 // 00000000F4C4: D2890052 00013503
	s_and_b32 s82, s82, 0xffffff                               // 00000000F4CC: 8652FF52 00FFFFFF
	s_cmp_lt_u32 s82, s66                                      // 00000000F4D4: BF0A4252
	s_cselect_b32 s20, s36, s60                                // 00000000F4D8: 85143C24
	v_readlane_b32 s82, v3, 27                                 // 00000000F4DC: D2890052 00013703
	s_and_b32 s82, s82, 0xffffff                               // 00000000F4E4: 8652FF52 00FFFFFF
	s_cmp_lt_u32 s82, s66                                      // 00000000F4EC: BF0A4252
	s_cselect_b32 s21, s36, s60                                // 00000000F4F0: 85153C24
	s_mov_b64 exec, s[20:21]                                   // 00000000F4F4: BEFE0114
	global_atomic_add_f32 v6, v193, s[8:9]                     // 00000000F4F8: DD348000 0008C106
	global_atomic_add_f32 v6, v197, s[8:9] offset:256          // 00000000F500: DD348100 0008C506
	s_mov_b64 exec, s[36:37]                                   // 00000000F508: BEFE0124
	v_mov_b32_e32 v6, v74                                      // 00000000F50C: 7E0C034A
	s_mov_b64 s[60:61], 0                                      // 00000000F510: BEBC0180
	v_readlane_b32 s82, v3, 28                                 // 00000000F514: D2890052 00013903
	s_and_b32 s82, s82, 0xffffff                               // 00000000F51C: 8652FF52 00FFFFFF
	s_cmp_lt_u32 s82, s66                                      // 00000000F524: BF0A4252
	s_cselect_b32 s20, s36, s60                                // 00000000F528: 85143C24
	v_readlane_b32 s82, v3, 29                                 // 00000000F52C: D2890052 00013B03
	s_and_b32 s82, s82, 0xffffff                               // 00000000F534: 8652FF52 00FFFFFF
	s_cmp_lt_u32 s82, s66                                      // 00000000F53C: BF0A4252
	s_cselect_b32 s21, s36, s60                                // 00000000F540: 85153C24
	s_mov_b64 exec, s[20:21]                                   // 00000000F544: BEFE0114
	global_atomic_add_f32 v6, v200, s[8:9]                     // 00000000F548: DD348000 0008C806
	global_atomic_add_f32 v6, v204, s[8:9] offset:256          // 00000000F550: DD348100 0008CC06
	s_mov_b64 exec, s[36:37]                                   // 00000000F558: BEFE0124
	v_mov_b32_e32 v6, v75                                      // 00000000F55C: 7E0C034B
	s_mov_b64 s[60:61], 0                                      // 00000000F560: BEBC0180
	v_readlane_b32 s82, v3, 30                                 // 00000000F564: D2890052 00013D03
	s_and_b32 s82, s82, 0xffffff                               // 00000000F56C: 8652FF52 00FFFFFF
	s_cmp_lt_u32 s82, s66                                      // 00000000F574: BF0A4252
	s_cselect_b32 s20, s36, s60                                // 00000000F578: 85143C24
	v_readlane_b32 s82, v3, 31                                 // 00000000F57C: D2890052 00013F03
	s_and_b32 s82, s82, 0xffffff                               // 00000000F584: 8652FF52 00FFFFFF
	s_cmp_lt_u32 s82, s66                                      // 00000000F58C: BF0A4252
	s_cselect_b32 s21, s36, s60                                // 00000000F590: 85153C24
	s_mov_b64 exec, s[20:21]                                   // 00000000F594: BEFE0114
	global_atomic_add_f32 v6, v201, s[8:9]                     // 00000000F598: DD348000 0008C906
	global_atomic_add_f32 v6, v205, s[8:9] offset:256          // 00000000F5A0: DD348100 0008CD06
	s_mov_b64 exec, s[36:37]                                   // 00000000F5A8: BEFE0124
	ds_write_b64 v20, v[146:147]                               // 00000000F5AC: D89A0000 00009214
	ds_write_b64 v20, v[150:151] offset:4352                   // 00000000F5B4: D89A1100 00009614
	ds_write_b64 v20, v[154:155] offset:8704                   // 00000000F5BC: D89A2200 00009A14
	ds_write_b64 v20, v[158:159] offset:13056                  // 00000000F5C4: D89A3300 00009E14
	ds_write_b64 v20, v[162:163] offset:17408                  // 00000000F5CC: D89A4400 0000A214
	ds_write_b64 v20, v[166:167] offset:21760                  // 00000000F5D4: D89A5500 0000A614
	ds_write_b64 v20, v[170:171] offset:26112                  // 00000000F5DC: D89A6600 0000AA14
	ds_write_b64 v20, v[174:175] offset:30464                  // 00000000F5E4: D89A7700 0000AE14
	ds_write_b64 v20, v[178:179] offset:2176                   // 00000000F5EC: D89A0880 0000B214
	ds_write_b64 v20, v[182:183] offset:6528                   // 00000000F5F4: D89A1980 0000B614
	ds_write_b64 v20, v[186:187] offset:10880                  // 00000000F5FC: D89A2A80 0000BA14
	ds_write_b64 v20, v[190:191] offset:15232                  // 00000000F604: D89A3B80 0000BE14
	ds_write_b64 v20, v[194:195] offset:19584                  // 00000000F60C: D89A4C80 0000C214
	ds_write_b64 v20, v[198:199] offset:23936                  // 00000000F614: D89A5D80 0000C614
	ds_write_b64 v20, v[202:203] offset:28288                  // 00000000F61C: D89A6E80 0000CA14
	ds_write_b64 v20, v[206:207] offset:32640                  // 00000000F624: D89A7F80 0000CE14
	s_waitcnt lgkmcnt(0)                                       // 00000000F62C: BF8CC07F
	s_barrier                                                  // 00000000F630: BF8A0000
	ds_read_b32 v146, v21                                      // 00000000F634: D86C0000 92000015
	ds_read_b32 v147, v21 offset:64                            // 00000000F63C: D86C0040 93000015
	ds_read_b32 v150, v21 offset:2176                          // 00000000F644: D86C0880 96000015
	ds_read_b32 v151, v21 offset:2240                          // 00000000F64C: D86C08C0 97000015
	ds_read_b32 v154, v21 offset:4352                          // 00000000F654: D86C1100 9A000015
	ds_read_b32 v155, v21 offset:4416                          // 00000000F65C: D86C1140 9B000015
	ds_read_b32 v158, v21 offset:6528                          // 00000000F664: D86C1980 9E000015
	ds_read_b32 v159, v21 offset:6592                          // 00000000F66C: D86C19C0 9F000015
	ds_read_b32 v162, v21 offset:8704                          // 00000000F674: D86C2200 A2000015
	ds_read_b32 v163, v21 offset:8768                          // 00000000F67C: D86C2240 A3000015
	ds_read_b32 v166, v21 offset:10880                         // 00000000F684: D86C2A80 A6000015
	ds_read_b32 v167, v21 offset:10944                         // 00000000F68C: D86C2AC0 A7000015
	ds_read_b32 v170, v21 offset:13056                         // 00000000F694: D86C3300 AA000015
	ds_read_b32 v171, v21 offset:13120                         // 00000000F69C: D86C3340 AB000015
	ds_read_b32 v174, v21 offset:15232                         // 00000000F6A4: D86C3B80 AE000015
	ds_read_b32 v175, v21 offset:15296                         // 00000000F6AC: D86C3BC0 AF000015
	ds_read_b32 v178, v21 offset:17408                         // 00000000F6B4: D86C4400 B2000015
	ds_read_b32 v179, v21 offset:17472                         // 00000000F6BC: D86C4440 B3000015
	ds_read_b32 v182, v21 offset:19584                         // 00000000F6C4: D86C4C80 B6000015
	ds_read_b32 v183, v21 offset:19648                         // 00000000F6CC: D86C4CC0 B7000015
	ds_read_b32 v186, v21 offset:21760                         // 00000000F6D4: D86C5500 BA000015
	ds_read_b32 v187, v21 offset:21824                         // 00000000F6DC: D86C5540 BB000015
	ds_read_b32 v190, v21 offset:23936                         // 00000000F6E4: D86C5D80 BE000015
	ds_read_b32 v191, v21 offset:24000                         // 00000000F6EC: D86C5DC0 BF000015
	ds_read_b32 v194, v21 offset:26112                         // 00000000F6F4: D86C6600 C2000015
	ds_read_b32 v195, v21 offset:26176                         // 00000000F6FC: D86C6640 C3000015
	ds_read_b32 v198, v21 offset:28288                         // 00000000F704: D86C6E80 C6000015
	ds_read_b32 v199, v21 offset:28352                         // 00000000F70C: D86C6EC0 C7000015
	ds_read_b32 v202, v21 offset:30464                         // 00000000F714: D86C7700 CA000015
	ds_read_b32 v203, v21 offset:30528                         // 00000000F71C: D86C7740 CB000015
	ds_read_b32 v206, v21 offset:32640                         // 00000000F724: D86C7F80 CE000015
	ds_read_b32 v207, v21 offset:32704                         // 00000000F72C: D86C7FC0 CF000015
	s_waitcnt lgkmcnt(0)                                       // 00000000F734: BF8CC07F
	v_mov_b32_e32 v7, 0                                        // 00000000F738: 7E0E0280
	s_mov_b64 exec, s[36:37]                                   // 00000000F73C: BEFE0124
	v_mov_b32_e32 v6, v60                                      // 00000000F740: 7E0C033C
	s_mov_b64 s[60:61], 0                                      // 00000000F744: BEBC0180
	v_readlane_b32 s82, v3, 0                                  // 00000000F748: D2890052 00010103
	s_and_b32 s82, s82, 0xffffff                               // 00000000F750: 8652FF52 00FFFFFF
	s_cmp_lt_u32 s82, s66                                      // 00000000F758: BF0A4252
	s_cselect_b32 s20, s36, s60                                // 00000000F75C: 85143C24
	v_readlane_b32 s82, v3, 1                                  // 00000000F760: D2890052 00010303
	s_and_b32 s82, s82, 0xffffff                               // 00000000F768: 8652FF52 00FFFFFF
	s_cmp_lt_u32 s82, s66                                      // 00000000F770: BF0A4252
	s_cselect_b32 s21, s36, s60                                // 00000000F774: 85153C24
	s_mov_b64 exec, s[20:21]                                   // 00000000F778: BEFE0114
	global_atomic_add_f32 v6, v146, s[8:9] offset:8            // 00000000F77C: DD348008 00089206
	global_atomic_add_f32 v6, v150, s[8:9] offset:264          // 00000000F784: DD348108 00089606
	s_mov_b64 exec, s[36:37]                                   // 00000000F78C: BEFE0124
	v_mov_b32_e32 v6, v61                                      // 00000000F790: 7E0C033D
	s_mov_b64 s[60:61], 0                                      // 00000000F794: BEBC0180
	v_readlane_b32 s82, v3, 2                                  // 00000000F798: D2890052 00010503
	s_and_b32 s82, s82, 0xffffff                               // 00000000F7A0: 8652FF52 00FFFFFF
	s_cmp_lt_u32 s82, s66                                      // 00000000F7A8: BF0A4252
	s_cselect_b32 s20, s36, s60                                // 00000000F7AC: 85143C24
	v_readlane_b32 s82, v3, 3                                  // 00000000F7B0: D2890052 00010703
	s_and_b32 s82, s82, 0xffffff                               // 00000000F7B8: 8652FF52 00FFFFFF
	s_cmp_lt_u32 s82, s66                                      // 00000000F7C0: BF0A4252
	s_cselect_b32 s21, s36, s60                                // 00000000F7C4: 85153C24
	s_mov_b64 exec, s[20:21]                                   // 00000000F7C8: BEFE0114
	global_atomic_add_f32 v6, v147, s[8:9] offset:8            // 00000000F7CC: DD348008 00089306
	global_atomic_add_f32 v6, v151, s[8:9] offset:264          // 00000000F7D4: DD348108 00089706
	s_mov_b64 exec, s[36:37]                                   // 00000000F7DC: BEFE0124
	v_mov_b32_e32 v6, v62                                      // 00000000F7E0: 7E0C033E
	s_mov_b64 s[60:61], 0                                      // 00000000F7E4: BEBC0180
	v_readlane_b32 s82, v3, 4                                  // 00000000F7E8: D2890052 00010903
	s_and_b32 s82, s82, 0xffffff                               // 00000000F7F0: 8652FF52 00FFFFFF
	s_cmp_lt_u32 s82, s66                                      // 00000000F7F8: BF0A4252
	s_cselect_b32 s20, s36, s60                                // 00000000F7FC: 85143C24
	v_readlane_b32 s82, v3, 5                                  // 00000000F800: D2890052 00010B03
	s_and_b32 s82, s82, 0xffffff                               // 00000000F808: 8652FF52 00FFFFFF
	s_cmp_lt_u32 s82, s66                                      // 00000000F810: BF0A4252
	s_cselect_b32 s21, s36, s60                                // 00000000F814: 85153C24
	s_mov_b64 exec, s[20:21]                                   // 00000000F818: BEFE0114
	global_atomic_add_f32 v6, v154, s[8:9] offset:8            // 00000000F81C: DD348008 00089A06
	global_atomic_add_f32 v6, v158, s[8:9] offset:264          // 00000000F824: DD348108 00089E06
	s_mov_b64 exec, s[36:37]                                   // 00000000F82C: BEFE0124
	v_mov_b32_e32 v6, v63                                      // 00000000F830: 7E0C033F
	s_mov_b64 s[60:61], 0                                      // 00000000F834: BEBC0180
	v_readlane_b32 s82, v3, 6                                  // 00000000F838: D2890052 00010D03
	s_and_b32 s82, s82, 0xffffff                               // 00000000F840: 8652FF52 00FFFFFF
	s_cmp_lt_u32 s82, s66                                      // 00000000F848: BF0A4252
	s_cselect_b32 s20, s36, s60                                // 00000000F84C: 85143C24
	v_readlane_b32 s82, v3, 7                                  // 00000000F850: D2890052 00010F03
	s_and_b32 s82, s82, 0xffffff                               // 00000000F858: 8652FF52 00FFFFFF
	s_cmp_lt_u32 s82, s66                                      // 00000000F860: BF0A4252
	s_cselect_b32 s21, s36, s60                                // 00000000F864: 85153C24
	s_mov_b64 exec, s[20:21]                                   // 00000000F868: BEFE0114
	global_atomic_add_f32 v6, v155, s[8:9] offset:8            // 00000000F86C: DD348008 00089B06
	global_atomic_add_f32 v6, v159, s[8:9] offset:264          // 00000000F874: DD348108 00089F06
	s_mov_b64 exec, s[36:37]                                   // 00000000F87C: BEFE0124
	v_mov_b32_e32 v6, v64                                      // 00000000F880: 7E0C0340
	s_mov_b64 s[60:61], 0                                      // 00000000F884: BEBC0180
	v_readlane_b32 s82, v3, 8                                  // 00000000F888: D2890052 00011103
	s_and_b32 s82, s82, 0xffffff                               // 00000000F890: 8652FF52 00FFFFFF
	s_cmp_lt_u32 s82, s66                                      // 00000000F898: BF0A4252
	s_cselect_b32 s20, s36, s60                                // 00000000F89C: 85143C24
	v_readlane_b32 s82, v3, 9                                  // 00000000F8A0: D2890052 00011303
	s_and_b32 s82, s82, 0xffffff                               // 00000000F8A8: 8652FF52 00FFFFFF
	s_cmp_lt_u32 s82, s66                                      // 00000000F8B0: BF0A4252
	s_cselect_b32 s21, s36, s60                                // 00000000F8B4: 85153C24
	s_mov_b64 exec, s[20:21]                                   // 00000000F8B8: BEFE0114
	global_atomic_add_f32 v6, v162, s[8:9] offset:8            // 00000000F8BC: DD348008 0008A206
	global_atomic_add_f32 v6, v166, s[8:9] offset:264          // 00000000F8C4: DD348108 0008A606
	s_mov_b64 exec, s[36:37]                                   // 00000000F8CC: BEFE0124
	v_mov_b32_e32 v6, v65                                      // 00000000F8D0: 7E0C0341
	s_mov_b64 s[60:61], 0                                      // 00000000F8D4: BEBC0180
	v_readlane_b32 s82, v3, 10                                 // 00000000F8D8: D2890052 00011503
	s_and_b32 s82, s82, 0xffffff                               // 00000000F8E0: 8652FF52 00FFFFFF
	s_cmp_lt_u32 s82, s66                                      // 00000000F8E8: BF0A4252
	s_cselect_b32 s20, s36, s60                                // 00000000F8EC: 85143C24
	v_readlane_b32 s82, v3, 11                                 // 00000000F8F0: D2890052 00011703
	s_and_b32 s82, s82, 0xffffff                               // 00000000F8F8: 8652FF52 00FFFFFF
	s_cmp_lt_u32 s82, s66                                      // 00000000F900: BF0A4252
	s_cselect_b32 s21, s36, s60                                // 00000000F904: 85153C24
	s_mov_b64 exec, s[20:21]                                   // 00000000F908: BEFE0114
	global_atomic_add_f32 v6, v163, s[8:9] offset:8            // 00000000F90C: DD348008 0008A306
	global_atomic_add_f32 v6, v167, s[8:9] offset:264          // 00000000F914: DD348108 0008A706
	s_mov_b64 exec, s[36:37]                                   // 00000000F91C: BEFE0124
	v_mov_b32_e32 v6, v66                                      // 00000000F920: 7E0C0342
	s_mov_b64 s[60:61], 0                                      // 00000000F924: BEBC0180
	v_readlane_b32 s82, v3, 12                                 // 00000000F928: D2890052 00011903
	s_and_b32 s82, s82, 0xffffff                               // 00000000F930: 8652FF52 00FFFFFF
	s_cmp_lt_u32 s82, s66                                      // 00000000F938: BF0A4252
	s_cselect_b32 s20, s36, s60                                // 00000000F93C: 85143C24
	v_readlane_b32 s82, v3, 13                                 // 00000000F940: D2890052 00011B03
	s_and_b32 s82, s82, 0xffffff                               // 00000000F948: 8652FF52 00FFFFFF
	s_cmp_lt_u32 s82, s66                                      // 00000000F950: BF0A4252
	s_cselect_b32 s21, s36, s60                                // 00000000F954: 85153C24
	s_mov_b64 exec, s[20:21]                                   // 00000000F958: BEFE0114
	global_atomic_add_f32 v6, v170, s[8:9] offset:8            // 00000000F95C: DD348008 0008AA06
	global_atomic_add_f32 v6, v174, s[8:9] offset:264          // 00000000F964: DD348108 0008AE06
	s_mov_b64 exec, s[36:37]                                   // 00000000F96C: BEFE0124
	v_mov_b32_e32 v6, v67                                      // 00000000F970: 7E0C0343
	s_mov_b64 s[60:61], 0                                      // 00000000F974: BEBC0180
	v_readlane_b32 s82, v3, 14                                 // 00000000F978: D2890052 00011D03
	s_and_b32 s82, s82, 0xffffff                               // 00000000F980: 8652FF52 00FFFFFF
	s_cmp_lt_u32 s82, s66                                      // 00000000F988: BF0A4252
	s_cselect_b32 s20, s36, s60                                // 00000000F98C: 85143C24
	v_readlane_b32 s82, v3, 15                                 // 00000000F990: D2890052 00011F03
	s_and_b32 s82, s82, 0xffffff                               // 00000000F998: 8652FF52 00FFFFFF
	s_cmp_lt_u32 s82, s66                                      // 00000000F9A0: BF0A4252
	s_cselect_b32 s21, s36, s60                                // 00000000F9A4: 85153C24
	s_mov_b64 exec, s[20:21]                                   // 00000000F9A8: BEFE0114
	global_atomic_add_f32 v6, v171, s[8:9] offset:8            // 00000000F9AC: DD348008 0008AB06
	global_atomic_add_f32 v6, v175, s[8:9] offset:264          // 00000000F9B4: DD348108 0008AF06
	s_mov_b64 exec, s[36:37]                                   // 00000000F9BC: BEFE0124
	v_mov_b32_e32 v6, v68                                      // 00000000F9C0: 7E0C0344
	s_mov_b64 s[60:61], 0                                      // 00000000F9C4: BEBC0180
	v_readlane_b32 s82, v3, 16                                 // 00000000F9C8: D2890052 00012103
	s_and_b32 s82, s82, 0xffffff                               // 00000000F9D0: 8652FF52 00FFFFFF
	s_cmp_lt_u32 s82, s66                                      // 00000000F9D8: BF0A4252
	s_cselect_b32 s20, s36, s60                                // 00000000F9DC: 85143C24
	v_readlane_b32 s82, v3, 17                                 // 00000000F9E0: D2890052 00012303
	s_and_b32 s82, s82, 0xffffff                               // 00000000F9E8: 8652FF52 00FFFFFF
	s_cmp_lt_u32 s82, s66                                      // 00000000F9F0: BF0A4252
	s_cselect_b32 s21, s36, s60                                // 00000000F9F4: 85153C24
	s_mov_b64 exec, s[20:21]                                   // 00000000F9F8: BEFE0114
	global_atomic_add_f32 v6, v178, s[8:9] offset:8            // 00000000F9FC: DD348008 0008B206
	global_atomic_add_f32 v6, v182, s[8:9] offset:264          // 00000000FA04: DD348108 0008B606
	s_mov_b64 exec, s[36:37]                                   // 00000000FA0C: BEFE0124
	v_mov_b32_e32 v6, v69                                      // 00000000FA10: 7E0C0345
	s_mov_b64 s[60:61], 0                                      // 00000000FA14: BEBC0180
	v_readlane_b32 s82, v3, 18                                 // 00000000FA18: D2890052 00012503
	s_and_b32 s82, s82, 0xffffff                               // 00000000FA20: 8652FF52 00FFFFFF
	s_cmp_lt_u32 s82, s66                                      // 00000000FA28: BF0A4252
	s_cselect_b32 s20, s36, s60                                // 00000000FA2C: 85143C24
	v_readlane_b32 s82, v3, 19                                 // 00000000FA30: D2890052 00012703
	s_and_b32 s82, s82, 0xffffff                               // 00000000FA38: 8652FF52 00FFFFFF
	s_cmp_lt_u32 s82, s66                                      // 00000000FA40: BF0A4252
	s_cselect_b32 s21, s36, s60                                // 00000000FA44: 85153C24
	s_mov_b64 exec, s[20:21]                                   // 00000000FA48: BEFE0114
	global_atomic_add_f32 v6, v179, s[8:9] offset:8            // 00000000FA4C: DD348008 0008B306
	global_atomic_add_f32 v6, v183, s[8:9] offset:264          // 00000000FA54: DD348108 0008B706
	s_mov_b64 exec, s[36:37]                                   // 00000000FA5C: BEFE0124
	v_mov_b32_e32 v6, v70                                      // 00000000FA60: 7E0C0346
	s_mov_b64 s[60:61], 0                                      // 00000000FA64: BEBC0180
	v_readlane_b32 s82, v3, 20                                 // 00000000FA68: D2890052 00012903
	s_and_b32 s82, s82, 0xffffff                               // 00000000FA70: 8652FF52 00FFFFFF
	s_cmp_lt_u32 s82, s66                                      // 00000000FA78: BF0A4252
	s_cselect_b32 s20, s36, s60                                // 00000000FA7C: 85143C24
	v_readlane_b32 s82, v3, 21                                 // 00000000FA80: D2890052 00012B03
	s_and_b32 s82, s82, 0xffffff                               // 00000000FA88: 8652FF52 00FFFFFF
	s_cmp_lt_u32 s82, s66                                      // 00000000FA90: BF0A4252
	s_cselect_b32 s21, s36, s60                                // 00000000FA94: 85153C24
	s_mov_b64 exec, s[20:21]                                   // 00000000FA98: BEFE0114
	global_atomic_add_f32 v6, v186, s[8:9] offset:8            // 00000000FA9C: DD348008 0008BA06
	global_atomic_add_f32 v6, v190, s[8:9] offset:264          // 00000000FAA4: DD348108 0008BE06
	s_mov_b64 exec, s[36:37]                                   // 00000000FAAC: BEFE0124
	v_mov_b32_e32 v6, v71                                      // 00000000FAB0: 7E0C0347
	s_mov_b64 s[60:61], 0                                      // 00000000FAB4: BEBC0180
	v_readlane_b32 s82, v3, 22                                 // 00000000FAB8: D2890052 00012D03
	s_and_b32 s82, s82, 0xffffff                               // 00000000FAC0: 8652FF52 00FFFFFF
	s_cmp_lt_u32 s82, s66                                      // 00000000FAC8: BF0A4252
	s_cselect_b32 s20, s36, s60                                // 00000000FACC: 85143C24
	v_readlane_b32 s82, v3, 23                                 // 00000000FAD0: D2890052 00012F03
	s_and_b32 s82, s82, 0xffffff                               // 00000000FAD8: 8652FF52 00FFFFFF
	s_cmp_lt_u32 s82, s66                                      // 00000000FAE0: BF0A4252
	s_cselect_b32 s21, s36, s60                                // 00000000FAE4: 85153C24
	s_mov_b64 exec, s[20:21]                                   // 00000000FAE8: BEFE0114
	global_atomic_add_f32 v6, v187, s[8:9] offset:8            // 00000000FAEC: DD348008 0008BB06
	global_atomic_add_f32 v6, v191, s[8:9] offset:264          // 00000000FAF4: DD348108 0008BF06
	s_mov_b64 exec, s[36:37]                                   // 00000000FAFC: BEFE0124
	v_mov_b32_e32 v6, v72                                      // 00000000FB00: 7E0C0348
	s_mov_b64 s[60:61], 0                                      // 00000000FB04: BEBC0180
	v_readlane_b32 s82, v3, 24                                 // 00000000FB08: D2890052 00013103
	s_and_b32 s82, s82, 0xffffff                               // 00000000FB10: 8652FF52 00FFFFFF
	s_cmp_lt_u32 s82, s66                                      // 00000000FB18: BF0A4252
	s_cselect_b32 s20, s36, s60                                // 00000000FB1C: 85143C24
	v_readlane_b32 s82, v3, 25                                 // 00000000FB20: D2890052 00013303
	s_and_b32 s82, s82, 0xffffff                               // 00000000FB28: 8652FF52 00FFFFFF
	s_cmp_lt_u32 s82, s66                                      // 00000000FB30: BF0A4252
	s_cselect_b32 s21, s36, s60                                // 00000000FB34: 85153C24
	s_mov_b64 exec, s[20:21]                                   // 00000000FB38: BEFE0114
	global_atomic_add_f32 v6, v194, s[8:9] offset:8            // 00000000FB3C: DD348008 0008C206
	global_atomic_add_f32 v6, v198, s[8:9] offset:264          // 00000000FB44: DD348108 0008C606
	s_mov_b64 exec, s[36:37]                                   // 00000000FB4C: BEFE0124
	v_mov_b32_e32 v6, v73                                      // 00000000FB50: 7E0C0349
	s_mov_b64 s[60:61], 0                                      // 00000000FB54: BEBC0180
	v_readlane_b32 s82, v3, 26                                 // 00000000FB58: D2890052 00013503
	s_and_b32 s82, s82, 0xffffff                               // 00000000FB60: 8652FF52 00FFFFFF
	s_cmp_lt_u32 s82, s66                                      // 00000000FB68: BF0A4252
	s_cselect_b32 s20, s36, s60                                // 00000000FB6C: 85143C24
	v_readlane_b32 s82, v3, 27                                 // 00000000FB70: D2890052 00013703
	s_and_b32 s82, s82, 0xffffff                               // 00000000FB78: 8652FF52 00FFFFFF
	s_cmp_lt_u32 s82, s66                                      // 00000000FB80: BF0A4252
	s_cselect_b32 s21, s36, s60                                // 00000000FB84: 85153C24
	s_mov_b64 exec, s[20:21]                                   // 00000000FB88: BEFE0114
	global_atomic_add_f32 v6, v195, s[8:9] offset:8            // 00000000FB8C: DD348008 0008C306
	global_atomic_add_f32 v6, v199, s[8:9] offset:264          // 00000000FB94: DD348108 0008C706
	s_mov_b64 exec, s[36:37]                                   // 00000000FB9C: BEFE0124
	v_mov_b32_e32 v6, v74                                      // 00000000FBA0: 7E0C034A
	s_mov_b64 s[60:61], 0                                      // 00000000FBA4: BEBC0180
	v_readlane_b32 s82, v3, 28                                 // 00000000FBA8: D2890052 00013903
	s_and_b32 s82, s82, 0xffffff                               // 00000000FBB0: 8652FF52 00FFFFFF
	s_cmp_lt_u32 s82, s66                                      // 00000000FBB8: BF0A4252
	s_cselect_b32 s20, s36, s60                                // 00000000FBBC: 85143C24
	v_readlane_b32 s82, v3, 29                                 // 00000000FBC0: D2890052 00013B03
	s_and_b32 s82, s82, 0xffffff                               // 00000000FBC8: 8652FF52 00FFFFFF
	s_cmp_lt_u32 s82, s66                                      // 00000000FBD0: BF0A4252
	s_cselect_b32 s21, s36, s60                                // 00000000FBD4: 85153C24
	s_mov_b64 exec, s[20:21]                                   // 00000000FBD8: BEFE0114
	global_atomic_add_f32 v6, v202, s[8:9] offset:8            // 00000000FBDC: DD348008 0008CA06
	global_atomic_add_f32 v6, v206, s[8:9] offset:264          // 00000000FBE4: DD348108 0008CE06
	s_mov_b64 exec, s[36:37]                                   // 00000000FBEC: BEFE0124
	v_mov_b32_e32 v6, v75                                      // 00000000FBF0: 7E0C034B
	s_mov_b64 s[60:61], 0                                      // 00000000FBF4: BEBC0180
	v_readlane_b32 s82, v3, 30                                 // 00000000FBF8: D2890052 00013D03
	s_and_b32 s82, s82, 0xffffff                               // 00000000FC00: 8652FF52 00FFFFFF
	s_cmp_lt_u32 s82, s66                                      // 00000000FC08: BF0A4252
	s_cselect_b32 s20, s36, s60                                // 00000000FC0C: 85143C24
	v_readlane_b32 s82, v3, 31                                 // 00000000FC10: D2890052 00013F03
	s_and_b32 s82, s82, 0xffffff                               // 00000000FC18: 8652FF52 00FFFFFF
	s_cmp_lt_u32 s82, s66                                      // 00000000FC20: BF0A4252
	s_cselect_b32 s21, s36, s60                                // 00000000FC24: 85153C24
	s_mov_b64 exec, s[20:21]                                   // 00000000FC28: BEFE0114
	global_atomic_add_f32 v6, v203, s[8:9] offset:8            // 00000000FC2C: DD348008 0008CB06
	global_atomic_add_f32 v6, v207, s[8:9] offset:264          // 00000000FC34: DD348108 0008CF06
	s_mov_b64 exec, s[36:37]                                   // 00000000FC3C: BEFE0124
	s_branch label_3494                                        // 00000000FC40: BF820000

000000000000fc44 <label_3494>:
	s_waitcnt vmcnt(0) expcnt(0) lgkmcnt(0)                    // 00000000FC44: BF8C0000
	s_endpgm                                                   // 00000000FC48: BF810000
